;; amdgpu-corpus repo=ROCm/rocFFT kind=compiled arch=gfx950 opt=O3
	.text
	.amdgcn_target "amdgcn-amd-amdhsa--gfx950"
	.amdhsa_code_object_version 6
	.protected	bluestein_single_back_len572_dim1_dp_op_CI_CI ; -- Begin function bluestein_single_back_len572_dim1_dp_op_CI_CI
	.globl	bluestein_single_back_len572_dim1_dp_op_CI_CI
	.p2align	8
	.type	bluestein_single_back_len572_dim1_dp_op_CI_CI,@function
bluestein_single_back_len572_dim1_dp_op_CI_CI: ; @bluestein_single_back_len572_dim1_dp_op_CI_CI
; %bb.0:
	s_load_dwordx4 s[4:7], s[0:1], 0x28
	v_mul_u32_u24_e32 v1, 0x4ed, v0
	v_add_u32_sdwa v236, s2, v1 dst_sel:DWORD dst_unused:UNUSED_PAD src0_sel:DWORD src1_sel:WORD_1
	v_mov_b32_e32 v237, 0
	s_waitcnt lgkmcnt(0)
	v_cmp_gt_u64_e32 vcc, s[4:5], v[236:237]
	s_and_saveexec_b64 s[2:3], vcc
	s_cbranch_execz .LBB0_23
; %bb.1:
	s_load_dwordx2 s[12:13], s[0:1], 0x0
	s_load_dwordx2 s[14:15], s[0:1], 0x38
	v_mov_b32_e32 v2, 52
	v_mul_lo_u16_sdwa v1, v1, v2 dst_sel:DWORD dst_unused:UNUSED_PAD src0_sel:WORD_1 src1_sel:DWORD
	v_sub_u16_e32 v159, v0, v1
	v_cmp_gt_u16_e64 s[4:5], 44, v159
	v_lshlrev_b32_e32 v156, 4, v159
	s_and_saveexec_b64 s[2:3], s[4:5]
	s_cbranch_execz .LBB0_3
; %bb.2:
	s_load_dwordx2 s[8:9], s[0:1], 0x18
	v_mov_b32_e32 v0, s6
	v_mov_b32_e32 v1, s7
	;; [unrolled: 1-line block ×4, first 2 shown]
	s_waitcnt lgkmcnt(0)
	s_load_dwordx4 s[8:11], s[8:9], 0x0
	v_lshl_add_u64 v[44:45], s[12:13], 0, v[156:157]
	s_waitcnt lgkmcnt(0)
	v_mad_u64_u32 v[2:3], s[6:7], s10, v236, 0
	v_mad_u64_u32 v[4:5], s[6:7], s8, v159, 0
	v_mov_b32_e32 v6, v3
	v_mov_b32_e32 v8, v5
	v_mad_u64_u32 v[6:7], s[6:7], s11, v236, v[6:7]
	v_mov_b32_e32 v3, v6
	v_mad_u64_u32 v[6:7], s[6:7], s9, v159, v[8:9]
	v_mov_b32_e32 v5, v6
	v_lshl_add_u64 v[0:1], v[2:3], 4, v[0:1]
	v_lshl_add_u64 v[8:9], v[4:5], 4, v[0:1]
	v_mad_u64_u32 v[24:25], s[6:7], s8, v106, v[8:9]
	s_mul_i32 s6, s9, 0x2c0
	s_nop 0
	v_add_u32_e32 v25, s6, v25
	v_mad_u64_u32 v[36:37], s[10:11], s8, v106, v[24:25]
	global_load_dwordx4 v[0:3], v[8:9], off
	global_load_dwordx4 v[4:7], v156, s[12:13]
	v_add_u32_e32 v37, s6, v37
	global_load_dwordx4 v[8:11], v156, s[12:13] offset:704
	global_load_dwordx4 v[12:15], v156, s[12:13] offset:1408
	global_load_dwordx4 v[20:23], v[24:25], off
	global_load_dwordx4 v[16:19], v[36:37], off
	v_mad_u64_u32 v[36:37], s[10:11], s8, v106, v[36:37]
	v_add_u32_e32 v37, s6, v37
	global_load_dwordx4 v[24:27], v156, s[12:13] offset:2112
	global_load_dwordx4 v[28:31], v156, s[12:13] offset:2816
	;; [unrolled: 1-line block ×3, first 2 shown]
	s_movk_i32 s7, 0x1000
	v_mad_u64_u32 v[46:47], s[10:11], s8, v106, v[36:37]
	global_load_dwordx4 v[36:39], v[36:37], off
	v_add_co_u32_e32 v100, vcc, s7, v44
	v_add_u32_e32 v47, s6, v47
	global_load_dwordx4 v[40:43], v[46:47], off
	s_movk_i32 s9, 0x2000
	v_addc_co_u32_e32 v101, vcc, 0, v45, vcc
	v_mad_u64_u32 v[48:49], s[10:11], s8, v106, v[46:47]
	v_add_co_u32_e32 v102, vcc, s9, v44
	v_add_u32_e32 v49, s6, v49
	s_nop 0
	v_addc_co_u32_e32 v103, vcc, 0, v45, vcc
	global_load_dwordx4 v[44:47], v[48:49], off
	v_mad_u64_u32 v[60:61], s[10:11], s8, v106, v[48:49]
	v_add_u32_e32 v61, s6, v61
	v_mad_u64_u32 v[64:65], s[10:11], s8, v106, v[60:61]
	global_load_dwordx4 v[48:51], v[60:61], off
	global_load_dwordx4 v[52:55], v[100:101], off offset:128
	global_load_dwordx4 v[56:59], v[100:101], off offset:832
	v_add_u32_e32 v65, s6, v65
	global_load_dwordx4 v[60:63], v[64:65], off
	v_mad_u64_u32 v[76:77], s[10:11], s8, v106, v[64:65]
	v_add_u32_e32 v77, s6, v77
	v_mad_u64_u32 v[80:81], s[10:11], s8, v106, v[76:77]
	global_load_dwordx4 v[64:67], v[76:77], off
	global_load_dwordx4 v[68:71], v[100:101], off offset:1536
	global_load_dwordx4 v[72:75], v[100:101], off offset:2240
	v_add_u32_e32 v81, s6, v81
	global_load_dwordx4 v[76:79], v[80:81], off
	v_mad_u64_u32 v[88:89], s[10:11], s8, v106, v[80:81]
	v_add_u32_e32 v89, s6, v89
	global_load_dwordx4 v[80:83], v[88:89], off
	global_load_dwordx4 v[84:87], v[100:101], off offset:2944
	v_mad_u64_u32 v[104:105], s[10:11], s8, v106, v[88:89]
	v_add_u32_e32 v105, s6, v105
	global_load_dwordx4 v[88:91], v[104:105], off
	global_load_dwordx4 v[92:95], v[100:101], off offset:3648
	global_load_dwordx4 v[96:99], v[102:103], off offset:256
	v_mad_u64_u32 v[100:101], s[8:9], s8, v106, v[104:105]
	v_add_u32_e32 v101, s6, v101
	global_load_dwordx4 v[100:103], v[100:101], off
	s_waitcnt vmcnt(24)
	v_mul_f64 v[104:105], v[2:3], v[6:7]
	v_mul_f64 v[6:7], v[0:1], v[6:7]
	v_fmac_f64_e32 v[104:105], v[0:1], v[4:5]
	v_fma_f64 v[106:107], v[2:3], v[4:5], -v[6:7]
	s_waitcnt vmcnt(21)
	v_mul_f64 v[0:1], v[22:23], v[10:11]
	v_mul_f64 v[2:3], v[20:21], v[10:11]
	v_fmac_f64_e32 v[0:1], v[20:21], v[8:9]
	v_fma_f64 v[2:3], v[22:23], v[8:9], -v[2:3]
	;; [unrolled: 5-line block ×3, first 2 shown]
	ds_write_b128 v156, v[104:107]
	ds_write_b128 v156, v[0:3] offset:704
	ds_write_b128 v156, v[4:7] offset:1408
	s_waitcnt vmcnt(16)
	v_mul_f64 v[0:1], v[38:39], v[26:27]
	v_mul_f64 v[2:3], v[36:37], v[26:27]
	v_fmac_f64_e32 v[0:1], v[36:37], v[24:25]
	v_fma_f64 v[2:3], v[38:39], v[24:25], -v[2:3]
	ds_write_b128 v156, v[0:3] offset:2112
	s_waitcnt vmcnt(15)
	v_mul_f64 v[0:1], v[42:43], v[30:31]
	v_mul_f64 v[2:3], v[40:41], v[30:31]
	v_fmac_f64_e32 v[0:1], v[40:41], v[28:29]
	v_fma_f64 v[2:3], v[42:43], v[28:29], -v[2:3]
	;; [unrolled: 6-line block ×10, first 2 shown]
	ds_write_b128 v156, v[0:3] offset:8448
.LBB0_3:
	s_or_b64 exec, exec, s[2:3]
	s_load_dwordx2 s[2:3], s[0:1], 0x20
	s_load_dwordx2 s[6:7], s[0:1], 0x8
	s_waitcnt lgkmcnt(0)
	; wave barrier
	s_waitcnt lgkmcnt(0)
                                        ; implicit-def: $vgpr4_vgpr5
                                        ; implicit-def: $vgpr8_vgpr9
                                        ; implicit-def: $vgpr20_vgpr21
                                        ; implicit-def: $vgpr28_vgpr29
                                        ; implicit-def: $vgpr36_vgpr37
                                        ; implicit-def: $vgpr48_vgpr49
                                        ; implicit-def: $vgpr52_vgpr53
                                        ; implicit-def: $vgpr44_vgpr45
                                        ; implicit-def: $vgpr40_vgpr41
                                        ; implicit-def: $vgpr32_vgpr33
                                        ; implicit-def: $vgpr24_vgpr25
                                        ; implicit-def: $vgpr16_vgpr17
                                        ; implicit-def: $vgpr12_vgpr13
	s_and_saveexec_b64 s[0:1], s[4:5]
	s_cbranch_execz .LBB0_5
; %bb.4:
	ds_read_b128 v[4:7], v156
	ds_read_b128 v[12:15], v156 offset:704
	ds_read_b128 v[16:19], v156 offset:1408
	;; [unrolled: 1-line block ×12, first 2 shown]
.LBB0_5:
	s_or_b64 exec, exec, s[0:1]
	s_mov_b32 s24, 0x4267c47c
	s_waitcnt lgkmcnt(0)
	v_add_f64 v[110:111], v[14:15], -v[54:55]
	s_mov_b32 s0, 0xe00740e9
	s_mov_b32 s25, 0xbfddbe06
	;; [unrolled: 1-line block ×3, first 2 shown]
	v_add_f64 v[86:87], v[52:53], v[12:13]
	v_add_f64 v[102:103], v[12:13], -v[52:53]
	s_mov_b32 s1, 0x3fec55a7
	v_mul_f64 v[76:77], v[110:111], s[24:25]
	s_mov_b32 s8, 0x1ea71119
	s_mov_b32 s21, 0xbfea55e2
	v_add_f64 v[126:127], v[18:19], -v[50:51]
	v_add_f64 v[90:91], v[54:55], v[14:15]
	v_mul_f64 v[78:79], v[102:103], s[24:25]
	v_fma_f64 v[0:1], s[0:1], v[86:87], v[76:77]
	s_mov_b32 s9, 0x3fe22d96
	v_add_f64 v[94:95], v[48:49], v[16:17]
	v_add_f64 v[114:115], v[16:17], -v[48:49]
	v_mul_f64 v[84:85], v[126:127], s[20:21]
	s_mov_b32 s26, 0x66966769
	v_add_f64 v[0:1], v[4:5], v[0:1]
	v_fma_f64 v[2:3], v[90:91], s[0:1], -v[78:79]
	v_add_f64 v[96:97], v[50:51], v[18:19]
	v_mul_f64 v[88:89], v[114:115], s[20:21]
	v_fma_f64 v[56:57], s[8:9], v[94:95], v[84:85]
	v_add_f64 v[134:135], v[10:11], -v[46:47]
	s_mov_b32 s10, 0xebaa3ed8
	s_mov_b32 s27, 0xbfefc445
	v_add_f64 v[2:3], v[6:7], v[2:3]
	v_add_f64 v[0:1], v[56:57], v[0:1]
	v_fma_f64 v[56:57], v[96:97], s[8:9], -v[88:89]
	v_add_f64 v[100:101], v[8:9], v[44:45]
	s_mov_b32 s11, 0x3fbedb7d
	v_mul_f64 v[92:93], v[134:135], s[26:27]
	v_add_f64 v[130:131], v[8:9], -v[44:45]
	s_mov_b32 s34, 0x2ef20147
	v_add_f64 v[2:3], v[56:57], v[2:3]
	v_add_f64 v[104:105], v[10:11], v[46:47]
	v_fma_f64 v[56:57], s[10:11], v[100:101], v[92:93]
	v_mul_f64 v[98:99], v[130:131], s[26:27]
	s_mov_b32 s18, 0xb2365da1
	s_mov_b32 s35, 0xbfedeba7
	v_add_f64 v[148:149], v[22:23], -v[42:43]
	v_add_f64 v[0:1], v[56:57], v[0:1]
	v_fma_f64 v[56:57], v[104:105], s[10:11], -v[98:99]
	s_mov_b32 s19, 0xbfd6b1d8
	v_add_f64 v[112:113], v[20:21], v[40:41]
	v_mul_f64 v[106:107], v[148:149], s[34:35]
	v_add_f64 v[146:147], v[20:21], -v[40:41]
	s_mov_b32 s30, 0x24c2f84
	v_add_f64 v[2:3], v[56:57], v[2:3]
	v_fma_f64 v[56:57], s[18:19], v[112:113], v[106:107]
	v_add_f64 v[118:119], v[22:23], v[42:43]
	v_mul_f64 v[108:109], v[146:147], s[34:35]
	s_mov_b32 s22, 0xd0032e0c
	s_mov_b32 s31, 0x3fe5384d
	;; [unrolled: 1-line block ×4, first 2 shown]
	v_add_f64 v[168:169], v[26:27], -v[38:39]
	v_add_f64 v[0:1], v[56:57], v[0:1]
	v_fma_f64 v[56:57], v[118:119], s[18:19], -v[108:109]
	s_mov_b32 s23, 0xbfe7f3cc
	v_add_f64 v[124:125], v[36:37], v[24:25]
	v_mul_f64 v[116:117], v[168:169], s[36:37]
	v_add_f64 v[164:165], v[24:25], -v[36:37]
	s_mov_b32 s38, 0x4bc48dbf
	v_add_f64 v[2:3], v[56:57], v[2:3]
	v_fma_f64 v[56:57], s[22:23], v[124:125], v[116:117]
	v_add_f64 v[128:129], v[38:39], v[26:27]
	v_mul_f64 v[120:121], v[164:165], s[36:37]
	s_mov_b32 s28, 0x93053d00
	s_mov_b32 s39, 0xbfcea1e5
	v_add_f64 v[176:177], v[34:35], -v[30:31]
	v_add_f64 v[0:1], v[56:57], v[0:1]
	v_fma_f64 v[56:57], v[128:129], s[22:23], -v[120:121]
	s_mov_b32 s29, 0xbfef11f4
	v_add_f64 v[136:137], v[28:29], v[32:33]
	v_mul_f64 v[122:123], v[176:177], s[38:39]
	v_add_f64 v[174:175], v[32:33], -v[28:29]
	v_add_f64 v[2:3], v[56:57], v[2:3]
	v_fma_f64 v[56:57], s[28:29], v[136:137], v[122:123]
	v_add_f64 v[138:139], v[30:31], v[34:35]
	v_mul_f64 v[132:133], v[174:175], s[38:39]
	v_add_f64 v[0:1], v[56:57], v[0:1]
	v_fma_f64 v[56:57], v[138:139], s[28:29], -v[132:133]
	v_mul_f64 v[140:141], v[110:111], s[20:21]
	v_add_f64 v[2:3], v[56:57], v[2:3]
	v_fma_f64 v[56:57], s[8:9], v[86:87], v[140:141]
	v_mul_f64 v[142:143], v[126:127], s[34:35]
	v_add_f64 v[56:57], v[4:5], v[56:57]
	v_fma_f64 v[58:59], s[18:19], v[94:95], v[142:143]
	v_mul_f64 v[152:153], v[102:103], s[20:21]
	v_add_f64 v[56:57], v[58:59], v[56:57]
	v_fma_f64 v[58:59], v[90:91], s[8:9], -v[152:153]
	v_mul_f64 v[160:161], v[114:115], s[34:35]
	v_add_f64 v[58:59], v[6:7], v[58:59]
	v_fma_f64 v[60:61], v[96:97], s[18:19], -v[160:161]
	v_mul_f64 v[144:145], v[134:135], s[38:39]
	v_add_f64 v[58:59], v[60:61], v[58:59]
	v_fma_f64 v[60:61], s[28:29], v[100:101], v[144:145]
	v_mul_f64 v[162:163], v[130:131], s[38:39]
	v_add_f64 v[56:57], v[60:61], v[56:57]
	v_fma_f64 v[60:61], v[104:105], s[28:29], -v[162:163]
	v_mul_f64 v[150:151], v[148:149], s[30:31]
	v_add_f64 v[58:59], v[60:61], v[58:59]
	v_fma_f64 v[60:61], s[22:23], v[112:113], v[150:151]
	v_mul_f64 v[170:171], v[146:147], s[30:31]
	s_mov_b32 s43, 0x3fefc445
	s_mov_b32 s42, s26
	v_add_f64 v[56:57], v[60:61], v[56:57]
	v_fma_f64 v[60:61], v[118:119], s[22:23], -v[170:171]
	v_mul_f64 v[154:155], v[168:169], s[42:43]
	v_add_f64 v[58:59], v[60:61], v[58:59]
	v_fma_f64 v[60:61], s[10:11], v[124:125], v[154:155]
	v_mul_f64 v[172:173], v[164:165], s[42:43]
	s_mov_b32 s41, 0x3fddbe06
	s_mov_b32 s40, s24
	v_add_f64 v[56:57], v[60:61], v[56:57]
	v_fma_f64 v[60:61], v[128:129], s[10:11], -v[172:173]
	v_mul_f64 v[166:167], v[176:177], s[40:41]
	v_add_f64 v[58:59], v[60:61], v[58:59]
	v_fma_f64 v[60:61], s[0:1], v[136:137], v[166:167]
	v_mul_f64 v[178:179], v[174:175], s[40:41]
	v_add_f64 v[80:81], v[60:61], v[56:57]
	v_fma_f64 v[56:57], v[138:139], s[0:1], -v[178:179]
	v_add_f64 v[82:83], v[56:57], v[58:59]
	v_mul_lo_u16_e32 v157, 13, v159
	s_waitcnt lgkmcnt(0)
	; wave barrier
	s_and_saveexec_b64 s[16:17], s[4:5]
	s_cbranch_execz .LBB0_7
; %bb.6:
	v_mul_f64 v[62:63], v[90:91], s[28:29]
	s_mov_b32 s47, 0x3fcea1e5
	s_mov_b32 s46, s38
	v_mul_f64 v[60:61], v[96:97], s[0:1]
	v_fma_f64 v[56:57], s[46:47], v[102:103], v[62:63]
	v_add_f64 v[56:57], v[6:7], v[56:57]
	v_fma_f64 v[58:59], s[24:25], v[114:115], v[60:61]
	v_mul_f64 v[64:65], v[104:105], s[22:23]
	v_add_f64 v[56:57], v[58:59], v[56:57]
	v_fma_f64 v[58:59], s[30:31], v[130:131], v[64:65]
	v_mul_f64 v[66:67], v[118:119], s[8:9]
	v_add_f64 v[56:57], v[58:59], v[56:57]
	v_fma_f64 v[58:59], s[20:21], v[146:147], v[66:67]
	s_mov_b32 s45, 0x3fedeba7
	s_mov_b32 s44, s34
	v_mul_f64 v[68:69], v[128:129], s[18:19]
	v_add_f64 v[56:57], v[58:59], v[56:57]
	v_fma_f64 v[58:59], s[44:45], v[164:165], v[68:69]
	v_mul_f64 v[70:71], v[110:111], s[38:39]
	v_add_f64 v[56:57], v[58:59], v[56:57]
	v_fma_f64 v[58:59], s[28:29], v[86:87], v[70:71]
	v_mul_f64 v[72:73], v[126:127], s[40:41]
	v_add_f64 v[58:59], v[4:5], v[58:59]
	v_fma_f64 v[74:75], s[0:1], v[94:95], v[72:73]
	v_fmac_f64_e32 v[62:63], s[38:39], v[102:103]
	v_add_f64 v[58:59], v[74:75], v[58:59]
	v_mul_f64 v[74:75], v[134:135], s[36:37]
	v_fmac_f64_e32 v[60:61], s[40:41], v[114:115]
	v_add_f64 v[62:63], v[6:7], v[62:63]
	v_fma_f64 v[180:181], s[22:23], v[100:101], v[74:75]
	s_mov_b32 s49, 0x3fea55e2
	s_mov_b32 s48, s20
	v_add_f64 v[60:61], v[60:61], v[62:63]
	v_fmac_f64_e32 v[64:65], s[36:37], v[130:131]
	v_add_f64 v[58:59], v[180:181], v[58:59]
	v_mul_f64 v[180:181], v[148:149], s[48:49]
	v_add_f64 v[60:61], v[64:65], v[60:61]
	v_fma_f64 v[64:65], v[86:87], s[28:29], -v[70:71]
	v_fma_f64 v[182:183], s[8:9], v[112:113], v[180:181]
	v_fma_f64 v[62:63], v[94:95], s[0:1], -v[72:73]
	v_add_f64 v[64:65], v[4:5], v[64:65]
	v_add_f64 v[58:59], v[182:183], v[58:59]
	v_mul_f64 v[182:183], v[168:169], s[34:35]
	v_fmac_f64_e32 v[66:67], s[48:49], v[146:147]
	v_add_f64 v[62:63], v[62:63], v[64:65]
	v_fma_f64 v[64:65], v[100:101], s[22:23], -v[74:75]
	v_fma_f64 v[184:185], s[18:19], v[124:125], v[182:183]
	v_mul_f64 v[186:187], v[138:139], s[10:11]
	v_add_f64 v[60:61], v[66:67], v[60:61]
	v_fmac_f64_e32 v[68:69], s[34:35], v[164:165]
	v_add_f64 v[62:63], v[64:65], v[62:63]
	v_fma_f64 v[64:65], v[112:113], s[8:9], -v[180:181]
	v_add_f64 v[184:185], v[184:185], v[58:59]
	v_fma_f64 v[58:59], s[26:27], v[174:175], v[186:187]
	v_mul_f64 v[188:189], v[176:177], s[42:43]
	v_add_f64 v[60:61], v[68:69], v[60:61]
	v_add_f64 v[62:63], v[64:65], v[62:63]
	v_fma_f64 v[64:65], v[124:125], s[18:19], -v[182:183]
	v_fmac_f64_e32 v[186:187], s[42:43], v[174:175]
	v_add_f64 v[64:65], v[64:65], v[62:63]
	v_add_f64 v[62:63], v[186:187], v[60:61]
	v_fma_f64 v[60:61], v[136:137], s[10:11], -v[188:189]
	v_mul_f64 v[68:69], v[90:91], s[22:23]
	v_add_f64 v[60:61], v[60:61], v[64:65]
	v_fma_f64 v[64:65], s[30:31], v[102:103], v[68:69]
	v_mul_f64 v[70:71], v[96:97], s[10:11]
	v_add_f64 v[64:65], v[6:7], v[64:65]
	v_fma_f64 v[66:67], s[26:27], v[114:115], v[70:71]
	v_mul_f64 v[72:73], v[104:105], s[8:9]
	v_add_f64 v[64:65], v[66:67], v[64:65]
	v_fma_f64 v[66:67], s[48:49], v[130:131], v[72:73]
	v_mul_f64 v[74:75], v[118:119], s[28:29]
	v_add_f64 v[64:65], v[66:67], v[64:65]
	v_fma_f64 v[66:67], s[38:39], v[146:147], v[74:75]
	v_mul_f64 v[180:181], v[128:129], s[0:1]
	v_add_f64 v[58:59], v[58:59], v[56:57]
	v_fma_f64 v[56:57], s[10:11], v[136:137], v[188:189]
	v_add_f64 v[64:65], v[66:67], v[64:65]
	v_fma_f64 v[66:67], s[24:25], v[164:165], v[180:181]
	v_mul_f64 v[182:183], v[110:111], s[36:37]
	v_add_f64 v[56:57], v[56:57], v[184:185]
	v_add_f64 v[64:65], v[66:67], v[64:65]
	v_fma_f64 v[66:67], s[22:23], v[86:87], v[182:183]
	v_mul_f64 v[184:185], v[126:127], s[42:43]
	v_add_f64 v[66:67], v[4:5], v[66:67]
	v_fma_f64 v[186:187], s[10:11], v[94:95], v[184:185]
	v_fmac_f64_e32 v[68:69], s[36:37], v[102:103]
	v_add_f64 v[66:67], v[186:187], v[66:67]
	v_mul_f64 v[186:187], v[134:135], s[20:21]
	v_fmac_f64_e32 v[70:71], s[42:43], v[114:115]
	v_add_f64 v[68:69], v[6:7], v[68:69]
	v_fma_f64 v[188:189], s[8:9], v[100:101], v[186:187]
	v_add_f64 v[68:69], v[70:71], v[68:69]
	v_fmac_f64_e32 v[72:73], s[20:21], v[130:131]
	v_add_f64 v[66:67], v[188:189], v[66:67]
	v_mul_f64 v[188:189], v[148:149], s[46:47]
	v_add_f64 v[68:69], v[72:73], v[68:69]
	v_fma_f64 v[72:73], v[86:87], s[22:23], -v[182:183]
	v_fma_f64 v[190:191], s[28:29], v[112:113], v[188:189]
	v_fma_f64 v[70:71], v[94:95], s[10:11], -v[184:185]
	v_add_f64 v[72:73], v[4:5], v[72:73]
	v_add_f64 v[66:67], v[190:191], v[66:67]
	v_mul_f64 v[190:191], v[168:169], s[40:41]
	v_fmac_f64_e32 v[74:75], s[46:47], v[146:147]
	v_add_f64 v[70:71], v[70:71], v[72:73]
	v_fma_f64 v[72:73], v[100:101], s[8:9], -v[186:187]
	v_fma_f64 v[192:193], s[0:1], v[124:125], v[190:191]
	v_mul_f64 v[194:195], v[138:139], s[18:19]
	v_add_f64 v[68:69], v[74:75], v[68:69]
	v_fmac_f64_e32 v[180:181], s[40:41], v[164:165]
	v_add_f64 v[70:71], v[72:73], v[70:71]
	v_fma_f64 v[72:73], v[112:113], s[28:29], -v[188:189]
	v_add_f64 v[192:193], v[192:193], v[66:67]
	v_fma_f64 v[66:67], s[44:45], v[174:175], v[194:195]
	v_mul_f64 v[196:197], v[176:177], s[34:35]
	v_add_f64 v[68:69], v[180:181], v[68:69]
	v_add_f64 v[70:71], v[72:73], v[70:71]
	v_fma_f64 v[72:73], v[124:125], s[0:1], -v[190:191]
	v_fmac_f64_e32 v[194:195], s[34:35], v[174:175]
	v_add_f64 v[72:73], v[72:73], v[70:71]
	v_add_f64 v[70:71], v[194:195], v[68:69]
	v_fma_f64 v[68:69], v[136:137], s[18:19], -v[196:197]
	v_mul_f64 v[180:181], v[90:91], s[18:19]
	v_add_f64 v[68:69], v[68:69], v[72:73]
	v_fma_f64 v[72:73], s[44:45], v[102:103], v[180:181]
	v_mul_f64 v[182:183], v[96:97], s[22:23]
	v_add_f64 v[72:73], v[6:7], v[72:73]
	v_fma_f64 v[74:75], s[36:37], v[114:115], v[182:183]
	;; [unrolled: 3-line block ×5, first 2 shown]
	v_add_f64 v[72:73], v[74:75], v[72:73]
	v_fma_f64 v[74:75], s[38:39], v[164:165], v[188:189]
	v_mul_f64 v[190:191], v[110:111], s[34:35]
	v_add_f64 v[64:65], v[64:65], v[192:193]
	v_add_f64 v[72:73], v[74:75], v[72:73]
	v_fma_f64 v[74:75], s[18:19], v[86:87], v[190:191]
	v_mul_f64 v[192:193], v[126:127], s[30:31]
	v_add_f64 v[74:75], v[4:5], v[74:75]
	v_fma_f64 v[194:195], s[22:23], v[94:95], v[192:193]
	v_fmac_f64_e32 v[180:181], s[34:35], v[102:103]
	v_add_f64 v[74:75], v[194:195], v[74:75]
	v_mul_f64 v[194:195], v[134:135], s[40:41]
	v_fmac_f64_e32 v[182:183], s[30:31], v[114:115]
	v_add_f64 v[180:181], v[6:7], v[180:181]
	v_fma_f64 v[196:197], s[0:1], v[100:101], v[194:195]
	v_add_f64 v[180:181], v[182:183], v[180:181]
	v_fmac_f64_e32 v[184:185], s[40:41], v[130:131]
	v_add_f64 v[74:75], v[196:197], v[74:75]
	v_mul_f64 v[196:197], v[148:149], s[26:27]
	v_add_f64 v[180:181], v[184:185], v[180:181]
	v_fma_f64 v[184:185], v[86:87], s[18:19], -v[190:191]
	v_fma_f64 v[198:199], s[10:11], v[112:113], v[196:197]
	v_fma_f64 v[182:183], v[94:95], s[22:23], -v[192:193]
	v_add_f64 v[184:185], v[4:5], v[184:185]
	v_add_f64 v[74:75], v[198:199], v[74:75]
	v_mul_f64 v[198:199], v[168:169], s[46:47]
	v_fmac_f64_e32 v[186:187], s[26:27], v[146:147]
	v_add_f64 v[182:183], v[182:183], v[184:185]
	v_fma_f64 v[184:185], v[100:101], s[0:1], -v[194:195]
	v_fma_f64 v[200:201], s[28:29], v[124:125], v[198:199]
	v_mul_f64 v[202:203], v[138:139], s[8:9]
	v_add_f64 v[180:181], v[186:187], v[180:181]
	v_fmac_f64_e32 v[188:189], s[46:47], v[164:165]
	v_add_f64 v[182:183], v[184:185], v[182:183]
	v_fma_f64 v[184:185], v[112:113], s[10:11], -v[196:197]
	v_add_f64 v[200:201], v[200:201], v[74:75]
	v_fma_f64 v[74:75], s[20:21], v[174:175], v[202:203]
	v_mul_f64 v[204:205], v[176:177], s[48:49]
	v_add_f64 v[180:181], v[188:189], v[180:181]
	v_add_f64 v[182:183], v[184:185], v[182:183]
	v_fma_f64 v[184:185], v[124:125], s[28:29], -v[198:199]
	v_fmac_f64_e32 v[202:203], s[48:49], v[174:175]
	v_add_f64 v[184:185], v[184:185], v[182:183]
	v_add_f64 v[182:183], v[202:203], v[180:181]
	v_fma_f64 v[180:181], v[136:137], s[8:9], -v[204:205]
	v_mul_f64 v[188:189], v[90:91], s[10:11]
	v_add_f64 v[180:181], v[180:181], v[184:185]
	v_fma_f64 v[184:185], s[42:43], v[102:103], v[188:189]
	v_mul_f64 v[190:191], v[96:97], s[28:29]
	v_add_f64 v[184:185], v[6:7], v[184:185]
	v_fma_f64 v[186:187], s[46:47], v[114:115], v[190:191]
	v_mul_f64 v[192:193], v[104:105], s[18:19]
	v_add_f64 v[184:185], v[186:187], v[184:185]
	v_fma_f64 v[186:187], s[34:35], v[130:131], v[192:193]
	v_mul_f64 v[194:195], v[118:119], s[0:1]
	v_add_f64 v[184:185], v[186:187], v[184:185]
	v_fma_f64 v[186:187], s[24:25], v[146:147], v[194:195]
	v_mul_f64 v[196:197], v[128:129], s[8:9]
	v_add_f64 v[184:185], v[186:187], v[184:185]
	v_fma_f64 v[186:187], s[48:49], v[164:165], v[196:197]
	v_mul_f64 v[110:111], v[110:111], s[26:27]
	v_add_f64 v[184:185], v[186:187], v[184:185]
	v_mul_f64 v[126:127], v[126:127], s[38:39]
	v_fma_f64 v[186:187], s[10:11], v[86:87], v[110:111]
	v_fma_f64 v[110:111], v[86:87], s[10:11], -v[110:111]
	v_add_f64 v[186:187], v[4:5], v[186:187]
	v_fma_f64 v[198:199], s[28:29], v[94:95], v[126:127]
	v_mul_f64 v[134:135], v[134:135], s[44:45]
	v_fmac_f64_e32 v[190:191], s[38:39], v[114:115]
	v_fma_f64 v[114:115], v[94:95], s[28:29], -v[126:127]
	v_add_f64 v[110:111], v[4:5], v[110:111]
	v_add_f64 v[186:187], v[198:199], v[186:187]
	v_fma_f64 v[198:199], s[18:19], v[100:101], v[134:135]
	v_add_f64 v[110:111], v[114:115], v[110:111]
	v_fma_f64 v[114:115], v[100:101], s[18:19], -v[134:135]
	v_mul_f64 v[134:135], v[90:91], s[8:9]
	v_fmac_f64_e32 v[192:193], s[44:45], v[130:131]
	v_mul_f64 v[130:131], v[96:97], s[18:19]
	v_add_f64 v[134:135], v[152:153], v[134:135]
	v_mul_f64 v[126:127], v[104:105], s[28:29]
	v_add_f64 v[130:131], v[160:161], v[130:131]
	v_add_f64 v[134:135], v[6:7], v[134:135]
	;; [unrolled: 1-line block ×4, first 2 shown]
	v_fmac_f64_e32 v[188:189], s[26:27], v[102:103]
	v_add_f64 v[126:127], v[126:127], v[130:131]
	v_mul_f64 v[130:131], v[86:87], s[0:1]
	v_mul_f64 v[90:91], v[90:91], s[0:1]
	;; [unrolled: 1-line block ×4, first 2 shown]
	v_add_f64 v[102:103], v[6:7], v[188:189]
	v_add_f64 v[86:87], v[86:87], -v[140:141]
	v_add_f64 v[78:79], v[78:79], v[90:91]
	v_add_f64 v[76:77], v[130:131], -v[76:77]
	v_mul_f64 v[168:169], v[168:169], s[20:21]
	v_add_f64 v[102:103], v[190:191], v[102:103]
	v_add_f64 v[110:111], v[114:115], v[110:111]
	v_fma_f64 v[114:115], v[112:113], s[0:1], -v[148:149]
	v_add_f64 v[86:87], v[4:5], v[86:87]
	v_add_f64 v[78:79], v[6:7], v[78:79]
	;; [unrolled: 1-line block ×6, first 2 shown]
	v_fma_f64 v[72:73], s[8:9], v[136:137], v[204:205]
	v_add_f64 v[186:187], v[198:199], v[186:187]
	v_fma_f64 v[198:199], s[0:1], v[112:113], v[148:149]
	v_fmac_f64_e32 v[194:195], s[40:41], v[146:147]
	v_add_f64 v[102:103], v[192:193], v[102:103]
	v_add_f64 v[110:111], v[114:115], v[110:111]
	v_fma_f64 v[114:115], v[124:125], s[8:9], -v[168:169]
	v_add_f64 v[6:7], v[18:19], v[6:7]
	v_add_f64 v[4:5], v[16:17], v[4:5]
	;; [unrolled: 1-line block ×4, first 2 shown]
	v_fma_f64 v[198:199], s[8:9], v[124:125], v[168:169]
	v_mul_f64 v[200:201], v[138:139], s[22:23]
	v_fmac_f64_e32 v[196:197], s[20:21], v[164:165]
	v_add_f64 v[102:103], v[194:195], v[102:103]
	v_add_f64 v[110:111], v[114:115], v[110:111]
	v_mul_f64 v[114:115], v[118:119], s[22:23]
	v_add_f64 v[6:7], v[10:11], v[6:7]
	v_add_f64 v[4:5], v[8:9], v[4:5]
	;; [unrolled: 1-line block ×3, first 2 shown]
	v_fma_f64 v[186:187], s[30:31], v[174:175], v[200:201]
	v_mul_f64 v[176:177], v[176:177], s[36:37]
	v_fmac_f64_e32 v[200:201], s[36:37], v[174:175]
	v_add_f64 v[102:103], v[196:197], v[102:103]
	v_add_f64 v[114:115], v[170:171], v[114:115]
	;; [unrolled: 1-line block ×5, first 2 shown]
	v_fma_f64 v[102:103], v[136:137], s[22:23], -v[176:177]
	v_add_f64 v[114:115], v[114:115], v[126:127]
	v_mul_f64 v[126:127], v[94:95], s[8:9]
	v_mul_f64 v[94:95], v[94:95], s[18:19]
	;; [unrolled: 1-line block ×3, first 2 shown]
	v_add_f64 v[6:7], v[26:27], v[6:7]
	v_add_f64 v[4:5], v[24:25], v[4:5]
	;; [unrolled: 1-line block ×3, first 2 shown]
	v_mul_f64 v[110:111], v[128:129], s[10:11]
	v_mul_f64 v[134:135], v[96:97], s[8:9]
	v_add_f64 v[150:151], v[152:153], -v[150:151]
	v_mul_f64 v[152:153], v[100:101], s[10:11]
	v_mul_f64 v[100:101], v[100:101], s[28:29]
	v_add_f64 v[94:95], v[94:95], -v[142:143]
	v_add_f64 v[6:7], v[34:35], v[6:7]
	v_add_f64 v[4:5], v[32:33], v[4:5]
	v_mul_f64 v[102:103], v[138:139], s[0:1]
	v_add_f64 v[110:111], v[172:173], v[110:111]
	v_mul_f64 v[104:105], v[104:105], s[10:11]
	v_add_f64 v[100:101], v[100:101], -v[144:145]
	v_add_f64 v[86:87], v[94:95], v[86:87]
	v_add_f64 v[88:89], v[88:89], v[134:135]
	;; [unrolled: 1-line block ×6, first 2 shown]
	v_mul_f64 v[114:115], v[124:125], s[10:11]
	v_mul_f64 v[118:119], v[118:119], s[18:19]
	v_add_f64 v[86:87], v[100:101], v[86:87]
	v_add_f64 v[98:99], v[98:99], v[104:105]
	;; [unrolled: 1-line block ×3, first 2 shown]
	v_add_f64 v[84:85], v[126:127], -v[84:85]
	v_add_f64 v[6:7], v[38:39], v[6:7]
	v_add_f64 v[4:5], v[36:37], v[4:5]
	v_mul_f64 v[110:111], v[136:137], s[0:1]
	v_add_f64 v[114:115], v[114:115], -v[154:155]
	v_mul_f64 v[112:113], v[112:113], s[18:19]
	v_mul_f64 v[128:129], v[128:129], s[22:23]
	v_add_f64 v[96:97], v[102:103], v[96:97]
	v_add_f64 v[86:87], v[150:151], v[86:87]
	;; [unrolled: 1-line block ×4, first 2 shown]
	v_add_f64 v[92:93], v[152:153], -v[92:93]
	v_add_f64 v[76:77], v[84:85], v[76:77]
	v_add_f64 v[6:7], v[42:43], v[6:7]
	;; [unrolled: 1-line block ×3, first 2 shown]
	v_add_f64 v[110:111], v[110:111], -v[166:167]
	v_mul_f64 v[124:125], v[124:125], s[22:23]
	v_mul_f64 v[138:139], v[138:139], s[28:29]
	v_add_f64 v[86:87], v[114:115], v[86:87]
	v_add_f64 v[100:101], v[120:121], v[128:129]
	;; [unrolled: 1-line block ×3, first 2 shown]
	v_add_f64 v[90:91], v[112:113], -v[106:107]
	v_add_f64 v[76:77], v[92:93], v[76:77]
	v_add_f64 v[6:7], v[46:47], v[6:7]
	;; [unrolled: 1-line block ×4, first 2 shown]
	v_fma_f64 v[184:185], s[22:23], v[136:137], v[176:177]
	v_mul_f64 v[136:137], v[136:137], s[28:29]
	v_add_f64 v[94:95], v[110:111], v[86:87]
	v_add_f64 v[86:87], v[132:133], v[138:139]
	v_add_f64 v[78:79], v[100:101], v[78:79]
	v_add_f64 v[88:89], v[124:125], -v[116:117]
	v_add_f64 v[76:77], v[90:91], v[76:77]
	v_add_f64 v[6:7], v[50:51], v[6:7]
	;; [unrolled: 1-line block ×4, first 2 shown]
	v_add_f64 v[86:87], v[136:137], -v[122:123]
	v_add_f64 v[76:77], v[88:89], v[76:77]
	v_add_f64 v[6:7], v[54:55], v[6:7]
	;; [unrolled: 1-line block ×3, first 2 shown]
	v_lshlrev_b32_e32 v8, 4, v157
	v_add_f64 v[184:185], v[184:185], v[198:199]
	v_add_f64 v[76:77], v[86:87], v[76:77]
	ds_write_b128 v8, v[4:7]
	ds_write_b128 v8, v[76:79] offset:16
	ds_write_b128 v8, v[94:97] offset:32
	;; [unrolled: 1-line block ×12, first 2 shown]
.LBB0_7:
	s_or_b64 exec, exec, s[16:17]
	s_movk_i32 s0, 0x4f
	v_mul_lo_u16_sdwa v4, v159, s0 dst_sel:DWORD dst_unused:UNUSED_PAD src0_sel:BYTE_0 src1_sel:DWORD
	v_lshrrev_b16_e32 v64, 10, v4
	v_mul_lo_u16_e32 v4, 13, v64
	v_sub_u16_e32 v4, v159, v4
	v_and_b32_e32 v65, 0xff, v4
	v_mul_u32_u24_e32 v4, 10, v65
	v_lshlrev_b32_e32 v44, 4, v4
	s_load_dwordx4 s[8:11], s[2:3], 0x0
	s_waitcnt lgkmcnt(0)
	; wave barrier
	s_waitcnt lgkmcnt(0)
	global_load_dwordx4 v[16:19], v44, s[6:7]
	global_load_dwordx4 v[12:15], v44, s[6:7] offset:16
	global_load_dwordx4 v[8:11], v44, s[6:7] offset:32
	;; [unrolled: 1-line block ×9, first 2 shown]
	ds_read_b128 v[66:69], v156
	ds_read_b128 v[44:47], v156 offset:832
	ds_read_b128 v[52:55], v156 offset:1664
	;; [unrolled: 1-line block ×10, first 2 shown]
	s_mov_b32 s20, 0xf8bb580b
	s_mov_b32 s18, 0x43842ef
	;; [unrolled: 1-line block ×26, first 2 shown]
	v_mul_u32_u24_e32 v64, 0x8f, v64
	v_add_lshl_u32 v158, v64, v65, 4
	s_waitcnt lgkmcnt(0)
	; wave barrier
	s_waitcnt vmcnt(9) lgkmcnt(0)
	v_mul_f64 v[78:79], v[46:47], v[18:19]
	v_mul_f64 v[104:105], v[44:45], v[18:19]
	s_waitcnt vmcnt(8)
	v_mul_f64 v[106:107], v[54:55], v[14:15]
	v_mul_f64 v[108:109], v[52:53], v[14:15]
	s_waitcnt vmcnt(5)
	v_mul_f64 v[116:117], v[76:77], v[34:35]
	v_mul_f64 v[48:49], v[74:75], v[34:35]
	v_fma_f64 v[44:45], v[44:45], v[16:17], -v[78:79]
	v_fmac_f64_e32 v[104:105], v[46:47], v[16:17]
	v_mul_f64 v[110:111], v[62:63], v[10:11]
	s_waitcnt vmcnt(0)
	v_mul_f64 v[130:131], v[102:103], v[38:39]
	v_mul_f64 v[112:113], v[60:61], v[10:11]
	;; [unrolled: 1-line block ×4, first 2 shown]
	v_fma_f64 v[78:79], v[52:53], v[12:13], -v[106:107]
	v_fmac_f64_e32 v[108:109], v[54:55], v[12:13]
	v_fma_f64 v[52:53], v[74:75], v[32:33], -v[116:117]
	v_fmac_f64_e32 v[48:49], v[76:77], v[32:33]
	v_fma_f64 v[46:47], v[100:101], v[36:37], -v[130:131]
	v_add_f64 v[74:75], v[66:67], v[44:45]
	v_add_f64 v[76:77], v[68:69], v[104:105]
	v_mul_f64 v[114:115], v[72:73], v[6:7]
	v_mul_f64 v[56:57], v[70:71], v[6:7]
	;; [unrolled: 1-line block ×4, first 2 shown]
	v_fma_f64 v[106:107], v[60:61], v[8:9], -v[110:111]
	v_fmac_f64_e32 v[112:113], v[62:63], v[8:9]
	v_fma_f64 v[54:55], v[84:85], v[28:29], -v[118:119]
	v_fma_f64 v[62:63], v[88:89], v[24:25], -v[120:121]
	v_add_f64 v[84:85], v[44:45], v[46:47]
	v_add_f64 v[88:89], v[44:45], -v[46:47]
	v_add_f64 v[44:45], v[74:75], v[78:79]
	v_add_f64 v[74:75], v[76:77], v[108:109]
	v_fma_f64 v[60:61], v[70:71], v[4:5], -v[114:115]
	v_fmac_f64_e32 v[56:57], v[72:73], v[4:5]
	v_add_f64 v[44:45], v[44:45], v[106:107]
	v_add_f64 v[74:75], v[74:75], v[112:113]
	;; [unrolled: 1-line block ×4, first 2 shown]
	v_fmac_f64_e32 v[50:51], v[86:87], v[28:29]
	v_add_f64 v[44:45], v[44:45], v[52:53]
	v_add_f64 v[74:75], v[74:75], v[48:49]
	v_mul_f64 v[122:123], v[94:95], v[22:23]
	v_mul_f64 v[124:125], v[92:93], v[22:23]
	;; [unrolled: 1-line block ×3, first 2 shown]
	v_fmac_f64_e32 v[58:59], v[90:91], v[24:25]
	v_add_f64 v[44:45], v[44:45], v[54:55]
	v_add_f64 v[74:75], v[74:75], v[50:51]
	v_mul_f64 v[126:127], v[98:99], v[42:43]
	v_mul_f64 v[128:129], v[96:97], v[42:43]
	v_fma_f64 v[70:71], v[92:93], v[20:21], -v[122:123]
	v_fmac_f64_e32 v[124:125], v[94:95], v[20:21]
	v_fmac_f64_e32 v[132:133], v[102:103], v[36:37]
	v_add_f64 v[44:45], v[44:45], v[62:63]
	v_add_f64 v[74:75], v[74:75], v[58:59]
	v_fma_f64 v[72:73], v[96:97], v[40:41], -v[126:127]
	v_fmac_f64_e32 v[128:129], v[98:99], v[40:41]
	v_add_f64 v[90:91], v[104:105], -v[132:133]
	v_add_f64 v[44:45], v[44:45], v[70:71]
	v_add_f64 v[74:75], v[74:75], v[124:125]
	;; [unrolled: 1-line block ×3, first 2 shown]
	v_mul_f64 v[76:77], v[90:91], s[20:21]
	v_add_f64 v[44:45], v[44:45], v[72:73]
	v_add_f64 v[74:75], v[74:75], v[128:129]
	v_mul_f64 v[92:93], v[88:89], s[20:21]
	v_mul_f64 v[96:97], v[90:91], s[16:17]
	;; [unrolled: 1-line block ×9, first 2 shown]
	v_add_f64 v[44:45], v[44:45], v[46:47]
	v_add_f64 v[46:47], v[74:75], v[132:133]
	v_fma_f64 v[74:75], v[84:85], s[22:23], -v[76:77]
	v_fma_f64 v[94:95], s[22:23], v[86:87], v[92:93]
	v_fmac_f64_e32 v[76:77], s[22:23], v[84:85]
	v_fma_f64 v[92:93], v[86:87], s[22:23], -v[92:93]
	v_fma_f64 v[98:99], v[84:85], s[0:1], -v[96:97]
	v_fma_f64 v[102:103], s[0:1], v[86:87], v[100:101]
	v_fmac_f64_e32 v[96:97], s[0:1], v[84:85]
	v_fma_f64 v[100:101], v[86:87], s[0:1], -v[100:101]
	;; [unrolled: 4-line block ×5, first 2 shown]
	v_add_f64 v[94:95], v[68:69], v[94:95]
	v_add_f64 v[92:93], v[68:69], v[92:93]
	;; [unrolled: 1-line block ×11, first 2 shown]
	v_add_f64 v[72:73], v[78:79], -v[72:73]
	v_add_f64 v[78:79], v[108:109], -v[128:129]
	v_mul_f64 v[88:89], v[78:79], s[16:17]
	v_add_f64 v[74:75], v[66:67], v[74:75]
	v_add_f64 v[76:77], v[66:67], v[76:77]
	;; [unrolled: 1-line block ×10, first 2 shown]
	v_fma_f64 v[90:91], v[84:85], s[0:1], -v[88:89]
	v_add_f64 v[86:87], v[108:109], v[128:129]
	v_add_f64 v[74:75], v[90:91], v[74:75]
	v_mul_f64 v[90:91], v[72:73], s[16:17]
	v_fmac_f64_e32 v[88:89], s[0:1], v[84:85]
	v_fma_f64 v[108:109], s[0:1], v[86:87], v[90:91]
	v_add_f64 v[76:77], v[88:89], v[76:77]
	v_fma_f64 v[88:89], v[86:87], s[0:1], -v[90:91]
	v_mul_f64 v[90:91], v[78:79], s[26:27]
	v_add_f64 v[88:89], v[88:89], v[92:93]
	v_fma_f64 v[92:93], v[84:85], s[24:25], -v[90:91]
	v_add_f64 v[92:93], v[92:93], v[98:99]
	v_mul_f64 v[98:99], v[72:73], s[26:27]
	v_fmac_f64_e32 v[90:91], s[24:25], v[84:85]
	v_add_f64 v[94:95], v[108:109], v[94:95]
	v_fma_f64 v[108:109], s[24:25], v[86:87], v[98:99]
	v_add_f64 v[90:91], v[90:91], v[96:97]
	v_fma_f64 v[96:97], v[86:87], s[24:25], -v[98:99]
	v_mul_f64 v[98:99], v[78:79], s[38:39]
	v_add_f64 v[102:103], v[108:109], v[102:103]
	v_add_f64 v[96:97], v[96:97], v[100:101]
	v_fma_f64 v[100:101], v[84:85], s[28:29], -v[98:99]
	v_mul_f64 v[108:109], v[72:73], s[38:39]
	v_fmac_f64_e32 v[98:99], s[28:29], v[84:85]
	v_add_f64 v[100:101], v[100:101], v[110:111]
	v_fma_f64 v[110:111], s[28:29], v[86:87], v[108:109]
	v_add_f64 v[98:99], v[98:99], v[104:105]
	v_fma_f64 v[104:105], v[86:87], s[28:29], -v[108:109]
	v_mul_f64 v[108:109], v[78:79], s[36:37]
	v_add_f64 v[110:111], v[110:111], v[116:117]
	v_add_f64 v[104:105], v[104:105], v[114:115]
	v_fma_f64 v[114:115], v[84:85], s[2:3], -v[108:109]
	v_mul_f64 v[116:117], v[72:73], s[36:37]
	v_add_f64 v[114:115], v[114:115], v[120:121]
	v_fma_f64 v[120:121], s[2:3], v[86:87], v[116:117]
	v_fmac_f64_e32 v[108:109], s[2:3], v[84:85]
	v_fma_f64 v[116:117], v[86:87], s[2:3], -v[116:117]
	v_mul_f64 v[78:79], v[78:79], s[34:35]
	v_mul_f64 v[72:73], v[72:73], s[34:35]
	v_add_f64 v[108:109], v[108:109], v[118:119]
	v_add_f64 v[116:117], v[116:117], v[122:123]
	v_fma_f64 v[118:119], v[84:85], s[22:23], -v[78:79]
	v_fma_f64 v[122:123], s[22:23], v[86:87], v[72:73]
	v_fmac_f64_e32 v[78:79], s[22:23], v[84:85]
	v_fma_f64 v[72:73], v[86:87], s[22:23], -v[72:73]
	v_add_f64 v[84:85], v[112:113], -v[124:125]
	v_add_f64 v[68:69], v[72:73], v[68:69]
	v_add_f64 v[72:73], v[106:107], v[70:71]
	v_mul_f64 v[86:87], v[84:85], s[18:19]
	v_add_f64 v[70:71], v[106:107], -v[70:71]
	v_fma_f64 v[106:107], v[72:73], s[2:3], -v[86:87]
	v_add_f64 v[66:67], v[78:79], v[66:67]
	v_add_f64 v[78:79], v[112:113], v[124:125]
	;; [unrolled: 1-line block ×3, first 2 shown]
	v_mul_f64 v[106:107], v[70:71], s[18:19]
	v_fmac_f64_e32 v[86:87], s[2:3], v[72:73]
	v_add_f64 v[76:77], v[86:87], v[76:77]
	v_fma_f64 v[86:87], v[78:79], s[2:3], -v[106:107]
	v_add_f64 v[86:87], v[86:87], v[88:89]
	v_mul_f64 v[88:89], v[84:85], s[38:39]
	v_fma_f64 v[112:113], s[2:3], v[78:79], v[106:107]
	v_fma_f64 v[106:107], v[72:73], s[28:29], -v[88:89]
	v_add_f64 v[92:93], v[106:107], v[92:93]
	v_mul_f64 v[106:107], v[70:71], s[38:39]
	v_fmac_f64_e32 v[88:89], s[28:29], v[72:73]
	v_add_f64 v[88:89], v[88:89], v[90:91]
	v_fma_f64 v[90:91], v[78:79], s[28:29], -v[106:107]
	s_mov_b32 s17, 0x3fed1bb4
	v_add_f64 v[90:91], v[90:91], v[96:97]
	v_mul_f64 v[96:97], v[84:85], s[16:17]
	v_add_f64 v[94:95], v[112:113], v[94:95]
	v_fma_f64 v[112:113], s[28:29], v[78:79], v[106:107]
	v_fma_f64 v[106:107], v[72:73], s[0:1], -v[96:97]
	v_add_f64 v[100:101], v[106:107], v[100:101]
	v_mul_f64 v[106:107], v[70:71], s[16:17]
	v_fmac_f64_e32 v[96:97], s[0:1], v[72:73]
	v_add_f64 v[96:97], v[96:97], v[98:99]
	v_fma_f64 v[98:99], v[78:79], s[0:1], -v[106:107]
	v_add_f64 v[102:103], v[112:113], v[102:103]
	v_fma_f64 v[112:113], s[0:1], v[78:79], v[106:107]
	v_add_f64 v[98:99], v[98:99], v[104:105]
	v_mul_f64 v[104:105], v[84:85], s[20:21]
	v_add_f64 v[110:111], v[112:113], v[110:111]
	v_fma_f64 v[106:107], v[72:73], s[22:23], -v[104:105]
	v_mul_f64 v[112:113], v[70:71], s[20:21]
	v_fmac_f64_e32 v[104:105], s[22:23], v[72:73]
	v_add_f64 v[104:105], v[104:105], v[108:109]
	v_fma_f64 v[108:109], v[78:79], s[22:23], -v[112:113]
	v_mul_f64 v[84:85], v[84:85], s[26:27]
	v_mul_f64 v[70:71], v[70:71], s[26:27]
	v_add_f64 v[106:107], v[106:107], v[114:115]
	v_fma_f64 v[114:115], s[22:23], v[78:79], v[112:113]
	v_add_f64 v[108:109], v[108:109], v[116:117]
	v_fma_f64 v[112:113], v[72:73], s[24:25], -v[84:85]
	v_fma_f64 v[116:117], s[24:25], v[78:79], v[70:71]
	v_fmac_f64_e32 v[84:85], s[24:25], v[72:73]
	v_fma_f64 v[70:71], v[78:79], s[24:25], -v[70:71]
	v_add_f64 v[72:73], v[56:57], v[58:59]
	v_add_f64 v[56:57], v[56:57], -v[58:59]
	v_add_f64 v[68:69], v[70:71], v[68:69]
	v_add_f64 v[70:71], v[60:61], v[62:63]
	v_mul_f64 v[58:59], v[56:57], s[26:27]
	v_add_f64 v[60:61], v[60:61], -v[62:63]
	v_fma_f64 v[62:63], v[70:71], s[24:25], -v[58:59]
	v_add_f64 v[62:63], v[62:63], v[74:75]
	v_mul_f64 v[74:75], v[60:61], s[26:27]
	v_fmac_f64_e32 v[58:59], s[24:25], v[70:71]
	v_fma_f64 v[78:79], s[24:25], v[72:73], v[74:75]
	v_add_f64 v[58:59], v[58:59], v[76:77]
	v_fma_f64 v[74:75], v[72:73], s[24:25], -v[74:75]
	v_mul_f64 v[76:77], v[56:57], s[36:37]
	v_add_f64 v[66:67], v[84:85], v[66:67]
	v_add_f64 v[74:75], v[74:75], v[86:87]
	v_fma_f64 v[84:85], v[70:71], s[2:3], -v[76:77]
	v_mul_f64 v[86:87], v[60:61], s[36:37]
	v_fmac_f64_e32 v[76:77], s[2:3], v[70:71]
	v_add_f64 v[84:85], v[84:85], v[92:93]
	v_fma_f64 v[92:93], s[2:3], v[72:73], v[86:87]
	v_add_f64 v[76:77], v[76:77], v[88:89]
	v_fma_f64 v[86:87], v[72:73], s[2:3], -v[86:87]
	v_mul_f64 v[88:89], v[56:57], s[20:21]
	v_add_f64 v[86:87], v[86:87], v[90:91]
	v_fma_f64 v[90:91], v[70:71], s[22:23], -v[88:89]
	v_add_f64 v[100:101], v[90:91], v[100:101]
	v_mul_f64 v[90:91], v[60:61], s[20:21]
	v_fmac_f64_e32 v[88:89], s[22:23], v[70:71]
	v_add_f64 v[96:97], v[88:89], v[96:97]
	v_fma_f64 v[88:89], v[72:73], s[22:23], -v[90:91]
	v_add_f64 v[98:99], v[88:89], v[98:99]
	v_mul_f64 v[88:89], v[56:57], s[30:31]
	v_add_f64 v[78:79], v[78:79], v[94:95]
	v_fma_f64 v[94:95], s[22:23], v[72:73], v[90:91]
	v_fma_f64 v[90:91], v[70:71], s[28:29], -v[88:89]
	v_add_f64 v[106:107], v[90:91], v[106:107]
	v_mul_f64 v[90:91], v[60:61], s[30:31]
	v_fmac_f64_e32 v[88:89], s[28:29], v[70:71]
	v_add_f64 v[118:119], v[118:119], v[130:131]
	v_add_f64 v[104:105], v[88:89], v[104:105]
	v_fma_f64 v[88:89], v[72:73], s[28:29], -v[90:91]
	v_mul_f64 v[56:57], v[56:57], s[16:17]
	v_add_f64 v[120:121], v[120:121], v[126:127]
	v_add_f64 v[112:113], v[112:113], v[118:119]
	;; [unrolled: 1-line block ×3, first 2 shown]
	v_fma_f64 v[88:89], v[70:71], s[0:1], -v[56:57]
	v_mul_f64 v[60:61], v[60:61], s[16:17]
	v_fmac_f64_e32 v[56:57], s[0:1], v[70:71]
	v_add_f64 v[70:71], v[48:49], -v[50:51]
	v_add_f64 v[122:123], v[122:123], v[132:133]
	v_add_f64 v[114:115], v[114:115], v[120:121]
	;; [unrolled: 1-line block ×4, first 2 shown]
	v_fma_f64 v[94:95], s[28:29], v[72:73], v[90:91]
	v_add_f64 v[112:113], v[88:89], v[112:113]
	v_fma_f64 v[88:89], s[0:1], v[72:73], v[60:61]
	v_add_f64 v[120:121], v[56:57], v[66:67]
	v_fma_f64 v[56:57], v[72:73], s[0:1], -v[60:61]
	v_add_f64 v[124:125], v[52:53], v[54:55]
	v_add_f64 v[72:73], v[52:53], -v[54:55]
	v_mul_f64 v[52:53], v[70:71], s[30:31]
	v_add_f64 v[116:117], v[116:117], v[122:123]
	v_add_f64 v[126:127], v[48:49], v[50:51]
	v_fma_f64 v[48:49], v[124:125], s[28:29], -v[52:53]
	v_mul_f64 v[54:55], v[72:73], s[30:31]
	v_fmac_f64_e32 v[52:53], s[28:29], v[124:125]
	v_add_f64 v[110:111], v[94:95], v[114:115]
	v_add_f64 v[114:115], v[88:89], v[116:117]
	v_add_f64 v[122:123], v[56:57], v[68:69]
	v_add_f64 v[88:89], v[52:53], v[58:59]
	v_fma_f64 v[52:53], v[126:127], s[28:29], -v[54:55]
	v_mul_f64 v[56:57], v[70:71], s[34:35]
	v_mul_f64 v[58:59], v[72:73], s[34:35]
	v_fma_f64 v[50:51], s[28:29], v[126:127], v[54:55]
	v_add_f64 v[90:91], v[52:53], v[74:75]
	v_fma_f64 v[52:53], v[124:125], s[22:23], -v[56:57]
	v_fma_f64 v[54:55], s[22:23], v[126:127], v[58:59]
	v_fmac_f64_e32 v[56:57], s[22:23], v[124:125]
	v_add_f64 v[54:55], v[54:55], v[92:93]
	v_add_f64 v[92:93], v[56:57], v[76:77]
	v_fma_f64 v[56:57], v[126:127], s[22:23], -v[58:59]
	v_mul_f64 v[60:61], v[70:71], s[26:27]
	v_add_f64 v[48:49], v[48:49], v[62:63]
	v_add_f64 v[94:95], v[56:57], v[86:87]
	v_fma_f64 v[56:57], v[124:125], s[24:25], -v[60:61]
	v_mul_f64 v[62:63], v[72:73], s[26:27]
	v_fmac_f64_e32 v[60:61], s[24:25], v[124:125]
	v_add_f64 v[116:117], v[60:61], v[96:97]
	v_fma_f64 v[60:61], v[126:127], s[24:25], -v[62:63]
	v_mul_f64 v[66:67], v[70:71], s[16:17]
	v_mul_f64 v[68:69], v[72:73], s[16:17]
	;; [unrolled: 1-line block ×4, first 2 shown]
	v_fma_f64 v[58:59], s[24:25], v[126:127], v[62:63]
	v_add_f64 v[118:119], v[60:61], v[98:99]
	v_fma_f64 v[60:61], v[124:125], s[0:1], -v[66:67]
	v_fma_f64 v[62:63], s[0:1], v[126:127], v[68:69]
	v_fmac_f64_e32 v[66:67], s[0:1], v[124:125]
	v_fma_f64 v[68:69], v[126:127], s[0:1], -v[68:69]
	v_fma_f64 v[70:71], v[124:125], s[2:3], -v[74:75]
	v_fma_f64 v[72:73], s[2:3], v[126:127], v[76:77]
	v_fmac_f64_e32 v[74:75], s[2:3], v[124:125]
	v_fma_f64 v[76:77], v[126:127], s[2:3], -v[76:77]
	v_add_f64 v[50:51], v[50:51], v[78:79]
	v_add_f64 v[52:53], v[52:53], v[84:85]
	;; [unrolled: 1-line block ×12, first 2 shown]
	ds_write_b128 v158, v[44:47]
	ds_write_b128 v158, v[48:51] offset:208
	ds_write_b128 v158, v[52:55] offset:416
	;; [unrolled: 1-line block ×10, first 2 shown]
	s_waitcnt lgkmcnt(0)
	; wave barrier
	s_waitcnt lgkmcnt(0)
	ds_read_b128 v[84:87], v156
	ds_read_b128 v[100:103], v156 offset:832
	ds_read_b128 v[112:115], v156 offset:2288
	;; [unrolled: 1-line block ×7, first 2 shown]
	v_cmp_gt_u16_e64 s[2:3], 39, v159
	s_and_saveexec_b64 s[0:1], s[2:3]
	s_cbranch_execz .LBB0_9
; %bb.8:
	ds_read_b128 v[116:119], v156 offset:1664
	ds_read_b128 v[92:95], v156 offset:3952
	;; [unrolled: 1-line block ×4, first 2 shown]
.LBB0_9:
	s_or_b64 exec, exec, s[0:1]
	v_mad_u64_u32 v[44:45], s[0:1], v159, 48, s[6:7]
	s_movk_i32 s16, 0x1000
	s_mov_b64 s[0:1], 0x11e0
	v_add_co_u32_e32 v46, vcc, s16, v44
	global_load_dwordx4 v[64:67], v[44:45], off offset:2080
	global_load_dwordx4 v[60:63], v[44:45], off offset:2096
	;; [unrolled: 1-line block ×3, first 2 shown]
	v_addc_co_u32_e32 v47, vcc, 0, v45, vcc
	v_lshl_add_u64 v[44:45], v[44:45], 0, s[0:1]
	global_load_dwordx4 v[68:71], v[46:47], off offset:480
	global_load_dwordx4 v[76:79], v[44:45], off offset:16
	;; [unrolled: 1-line block ×3, first 2 shown]
	v_add_u32_e32 v44, 0x68, v159
	v_subrev_u32_e32 v45, 39, v159
	v_cndmask_b32_e64 v44, v45, v44, s[2:3]
	v_mul_hi_i32_i24_e32 v45, 48, v44
	v_mul_i32_i24_e32 v44, 48, v44
	v_lshl_add_u64 v[44:45], s[6:7], 0, v[44:45]
	global_load_dwordx4 v[246:249], v[44:45], off offset:2080
	global_load_dwordx4 v[250:253], v[44:45], off offset:2096
	;; [unrolled: 1-line block ×3, first 2 shown]
	s_waitcnt vmcnt(8) lgkmcnt(5)
	v_mul_f64 v[44:45], v[114:115], v[66:67]
	v_mul_f64 v[46:47], v[112:113], v[66:67]
	s_waitcnt vmcnt(7) lgkmcnt(3)
	v_mul_f64 v[48:49], v[122:123], v[62:63]
	v_mul_f64 v[50:51], v[120:121], v[62:63]
	;; [unrolled: 3-line block ×3, first 2 shown]
	v_fma_f64 v[44:45], v[112:113], v[64:65], -v[44:45]
	v_fmac_f64_e32 v[46:47], v[114:115], v[64:65]
	v_fma_f64 v[48:49], v[120:121], v[60:61], -v[48:49]
	v_fmac_f64_e32 v[50:51], v[122:123], v[60:61]
	;; [unrolled: 2-line block ×3, first 2 shown]
	s_waitcnt vmcnt(5)
	v_mul_f64 v[114:115], v[98:99], v[70:71]
	v_mul_f64 v[120:121], v[96:97], v[70:71]
	s_waitcnt vmcnt(4)
	v_mul_f64 v[122:123], v[106:107], v[78:79]
	v_mul_f64 v[124:125], v[104:105], v[78:79]
	s_waitcnt vmcnt(3) lgkmcnt(0)
	v_mul_f64 v[126:127], v[110:111], v[74:75]
	v_mul_f64 v[128:129], v[108:109], v[74:75]
	v_fma_f64 v[114:115], v[96:97], v[68:69], -v[114:115]
	v_fmac_f64_e32 v[120:121], v[98:99], v[68:69]
	v_fma_f64 v[96:97], v[104:105], v[76:77], -v[122:123]
	v_fmac_f64_e32 v[124:125], v[106:107], v[76:77]
	;; [unrolled: 2-line block ×3, first 2 shown]
	v_add_f64 v[48:49], v[84:85], -v[48:49]
	v_add_f64 v[50:51], v[86:87], -v[50:51]
	;; [unrolled: 1-line block ×4, first 2 shown]
	s_waitcnt vmcnt(2)
	v_mul_f64 v[108:109], v[94:95], v[248:249]
	v_mul_f64 v[122:123], v[92:93], v[248:249]
	v_fma_f64 v[132:133], v[84:85], 2.0, -v[48:49]
	v_fma_f64 v[134:135], v[86:87], 2.0, -v[50:51]
	;; [unrolled: 1-line block ×4, first 2 shown]
	v_add_f64 v[84:85], v[48:49], -v[106:107]
	v_add_f64 v[86:87], v[50:51], v[104:105]
	v_add_f64 v[136:137], v[100:101], -v[96:97]
	v_add_f64 v[124:125], v[102:103], -v[124:125]
	;; [unrolled: 1-line block ×4, first 2 shown]
	s_waitcnt vmcnt(1)
	v_mul_f64 v[110:111], v[90:91], v[252:253]
	v_mul_f64 v[126:127], v[88:89], v[252:253]
	s_waitcnt vmcnt(0)
	v_mul_f64 v[112:113], v[82:83], v[240:241]
	v_mul_f64 v[130:131], v[80:81], v[240:241]
	v_fma_f64 v[140:141], v[92:93], v[246:247], -v[108:109]
	v_fmac_f64_e32 v[122:123], v[94:95], v[246:247]
	v_add_f64 v[96:97], v[132:133], -v[44:45]
	v_add_f64 v[98:99], v[134:135], -v[46:47]
	v_fma_f64 v[92:93], v[48:49], 2.0, -v[84:85]
	v_fma_f64 v[94:95], v[50:51], 2.0, -v[86:87]
	;; [unrolled: 1-line block ×6, first 2 shown]
	v_fma_f64 v[142:143], v[88:89], v[250:251], -v[110:111]
	v_fmac_f64_e32 v[126:127], v[90:91], v[250:251]
	v_fma_f64 v[80:81], v[80:81], v[238:239], -v[112:113]
	v_fmac_f64_e32 v[130:131], v[82:83], v[238:239]
	v_add_f64 v[104:105], v[44:45], -v[48:49]
	v_add_f64 v[106:107], v[46:47], -v[50:51]
	v_fma_f64 v[100:101], v[44:45], 2.0, -v[104:105]
	v_fma_f64 v[102:103], v[46:47], 2.0, -v[106:107]
	v_add_f64 v[44:45], v[116:117], -v[142:143]
	v_add_f64 v[46:47], v[118:119], -v[126:127]
	;; [unrolled: 1-line block ×4, first 2 shown]
	v_add_f64 v[114:115], v[124:125], v[138:139]
	v_fma_f64 v[48:49], v[116:117], 2.0, -v[44:45]
	v_fma_f64 v[50:51], v[118:119], 2.0, -v[46:47]
	;; [unrolled: 1-line block ×4, first 2 shown]
	v_add_f64 v[112:113], v[136:137], -v[128:129]
	v_fma_f64 v[110:111], v[124:125], 2.0, -v[114:115]
	v_add_f64 v[124:125], v[48:49], -v[116:117]
	v_add_f64 v[126:127], v[50:51], -v[118:119]
	v_add_f64 v[128:129], v[44:45], -v[82:83]
	v_add_f64 v[130:131], v[46:47], v[80:81]
	v_fma_f64 v[88:89], v[132:133], 2.0, -v[96:97]
	v_fma_f64 v[90:91], v[134:135], 2.0, -v[98:99]
	;; [unrolled: 1-line block ×7, first 2 shown]
	ds_write_b128 v156, v[88:91]
	ds_write_b128 v156, v[92:95] offset:2288
	ds_write_b128 v156, v[96:99] offset:4576
	;; [unrolled: 1-line block ×7, first 2 shown]
	s_and_saveexec_b64 s[0:1], s[2:3]
	s_cbranch_execz .LBB0_11
; %bb.10:
	ds_write_b128 v156, v[116:119] offset:1664
	ds_write_b128 v156, v[120:123] offset:3952
	;; [unrolled: 1-line block ×4, first 2 shown]
.LBB0_11:
	s_or_b64 exec, exec, s[0:1]
	s_waitcnt lgkmcnt(0)
	; wave barrier
	s_waitcnt lgkmcnt(0)
	s_and_saveexec_b64 s[6:7], s[4:5]
	s_cbranch_execz .LBB0_13
; %bb.12:
	v_mov_b32_e32 v44, v157
	v_mov_b32_e32 v157, 0
	v_lshl_add_u64 v[144:145], s[12:13], 0, v[156:157]
	s_mov_b64 s[0:1], 0x23c0
	v_lshl_add_u64 v[146:147], v[144:145], 0, s[0:1]
	s_movk_i32 s0, 0x3000
	v_mov_b32_e32 v157, v44
	v_add_co_u32_e64 v44, s[0:1], s0, v144
	v_add_co_u32_e32 v148, vcc, 0x2000, v144
	global_load_dwordx4 v[80:83], v[146:147], off offset:704
	global_load_dwordx4 v[132:135], v[146:147], off offset:1408
	;; [unrolled: 1-line block ×4, first 2 shown]
	v_addc_co_u32_e64 v45, s[0:1], 0, v145, s[0:1]
	global_load_dwordx4 v[150:153], v[44:45], off offset:1088
	global_load_dwordx4 v[160:163], v[44:45], off offset:1792
	;; [unrolled: 1-line block ×3, first 2 shown]
	v_addc_co_u32_e32 v149, vcc, 0, v145, vcc
	global_load_dwordx4 v[168:171], v[148:149], off offset:960
	s_nop 0
	global_load_dwordx4 v[146:149], v[146:147], off offset:3520
	s_nop 0
	global_load_dwordx4 v[172:175], v[44:45], off offset:3200
	global_load_dwordx4 v[176:179], v[44:45], off offset:3904
	s_movk_i32 s0, 0x4000
	v_add_co_u32_e32 v44, vcc, s0, v144
	s_nop 1
	v_addc_co_u32_e32 v45, vcc, 0, v145, vcc
	global_load_dwordx4 v[180:183], v[44:45], off offset:512
	global_load_dwordx4 v[184:187], v[44:45], off offset:1216
	ds_read_b128 v[188:191], v156
	ds_read_b128 v[192:195], v156 offset:704
	ds_read_b128 v[196:199], v156 offset:1408
	;; [unrolled: 1-line block ×9, first 2 shown]
	s_waitcnt vmcnt(12) lgkmcnt(8)
	v_mul_f64 v[44:45], v[194:195], v[82:83]
	v_mul_f64 v[144:145], v[192:193], v[82:83]
	s_waitcnt vmcnt(11) lgkmcnt(7)
	v_mul_f64 v[46:47], v[198:199], v[134:135]
	v_mul_f64 v[82:83], v[196:197], v[134:135]
	;; [unrolled: 3-line block ×7, first 2 shown]
	s_waitcnt vmcnt(5)
	v_mul_f64 v[244:245], v[190:191], v[170:171]
	v_mul_f64 v[166:167], v[188:189], v[170:171]
	v_fma_f64 v[142:143], v[192:193], v[80:81], -v[44:45]
	v_fmac_f64_e32 v[144:145], v[194:195], v[80:81]
	v_fma_f64 v[80:81], v[196:197], v[132:133], -v[46:47]
	v_fmac_f64_e32 v[82:83], v[198:199], v[132:133]
	;; [unrolled: 2-line block ×4, first 2 shown]
	s_waitcnt vmcnt(4)
	v_mul_f64 v[44:45], v[210:211], v[148:149]
	v_mul_f64 v[140:141], v[208:209], v[148:149]
	v_fma_f64 v[152:153], v[212:213], v[150:151], -v[228:229]
	v_fmac_f64_e32 v[154:155], v[214:215], v[150:151]
	v_fma_f64 v[228:229], v[216:217], v[160:161], -v[232:233]
	v_fmac_f64_e32 v[230:231], v[218:219], v[160:161]
	;; [unrolled: 2-line block ×4, first 2 shown]
	ds_write_b128 v156, v[142:145] offset:704
	ds_write_b128 v156, v[80:83] offset:1408
	;; [unrolled: 1-line block ×4, first 2 shown]
	v_fma_f64 v[138:139], v[208:209], v[146:147], -v[44:45]
	v_fmac_f64_e32 v[140:141], v[210:211], v[146:147]
	ds_write_b128 v156, v[152:155] offset:4224
	ds_write_b128 v156, v[228:231] offset:4928
	ds_write_b128 v156, v[164:167]
	ds_write_b128 v156, v[138:141] offset:3520
	ds_write_b128 v156, v[160:163] offset:5632
	ds_read_b128 v[132:135], v156 offset:7040
	s_waitcnt vmcnt(3) lgkmcnt(10)
	v_mul_f64 v[44:45], v[226:227], v[174:175]
	v_mul_f64 v[82:83], v[224:225], v[174:175]
	v_fma_f64 v[80:81], v[224:225], v[172:173], -v[44:45]
	v_fmac_f64_e32 v[82:83], v[226:227], v[172:173]
	ds_write_b128 v156, v[80:83] offset:6336
	ds_read_b128 v[80:83], v156 offset:7744
	s_waitcnt vmcnt(2) lgkmcnt(2)
	v_mul_f64 v[44:45], v[134:135], v[178:179]
	v_mul_f64 v[138:139], v[132:133], v[178:179]
	v_fma_f64 v[136:137], v[132:133], v[176:177], -v[44:45]
	v_fmac_f64_e32 v[138:139], v[134:135], v[176:177]
	ds_read_b128 v[132:135], v156 offset:8448
	ds_write_b128 v156, v[136:139] offset:7040
	s_waitcnt vmcnt(1) lgkmcnt(2)
	v_mul_f64 v[44:45], v[82:83], v[182:183]
	v_mul_f64 v[138:139], v[80:81], v[182:183]
	v_fma_f64 v[136:137], v[80:81], v[180:181], -v[44:45]
	v_fmac_f64_e32 v[138:139], v[82:83], v[180:181]
	s_waitcnt vmcnt(0) lgkmcnt(1)
	v_mul_f64 v[44:45], v[134:135], v[186:187]
	v_mul_f64 v[82:83], v[132:133], v[186:187]
	v_fma_f64 v[80:81], v[132:133], v[184:185], -v[44:45]
	v_fmac_f64_e32 v[82:83], v[134:135], v[184:185]
	ds_write_b128 v156, v[136:139] offset:7744
	ds_write_b128 v156, v[80:83] offset:8448
.LBB0_13:
	s_or_b64 exec, exec, s[6:7]
	s_waitcnt lgkmcnt(0)
	; wave barrier
	s_waitcnt lgkmcnt(0)
	s_and_saveexec_b64 s[0:1], s[4:5]
	s_cbranch_execz .LBB0_15
; %bb.14:
	ds_read_b128 v[88:91], v156
	ds_read_b128 v[92:95], v156 offset:704
	ds_read_b128 v[96:99], v156 offset:1408
	;; [unrolled: 1-line block ×12, first 2 shown]
.LBB0_15:
	s_or_b64 exec, exec, s[0:1]
	s_mov_b32 s18, 0x42a4c3d2
	s_waitcnt lgkmcnt(0)
	v_add_f64 v[166:167], v[94:95], -v[2:3]
	s_mov_b32 s0, 0x1ea71119
	s_mov_b32 s19, 0xbfea55e2
	;; [unrolled: 1-line block ×3, first 2 shown]
	v_add_f64 v[160:161], v[0:1], v[92:93]
	v_add_f64 v[162:163], v[2:3], v[94:95]
	s_mov_b32 s1, 0x3fe22d96
	v_mul_f64 v[50:51], v[166:167], s[18:19]
	v_add_f64 v[174:175], v[98:99], -v[130:131]
	s_mov_b32 s16, 0xb2365da1
	s_mov_b32 s23, 0xbfedeba7
	v_add_f64 v[172:173], v[92:93], -v[0:1]
	v_mul_f64 v[196:197], v[162:163], s[0:1]
	v_fma_f64 v[44:45], v[160:161], s[0:1], -v[50:51]
	v_add_f64 v[164:165], v[128:129], v[96:97]
	v_add_f64 v[168:169], v[130:131], v[98:99]
	s_mov_b32 s17, 0xbfd6b1d8
	v_mul_f64 v[200:201], v[174:175], s[22:23]
	s_mov_b32 s28, 0x4bc48dbf
	v_add_f64 v[44:45], v[88:89], v[44:45]
	v_fma_f64 v[46:47], s[18:19], v[172:173], v[196:197]
	v_add_f64 v[180:181], v[96:97], -v[128:129]
	v_mul_f64 v[208:209], v[168:169], s[16:17]
	v_fma_f64 v[48:49], v[164:165], s[16:17], -v[200:201]
	v_add_f64 v[182:183], v[86:87], -v[126:127]
	s_mov_b32 s20, 0x93053d00
	s_mov_b32 s29, 0xbfcea1e5
	v_add_f64 v[46:47], v[90:91], v[46:47]
	v_add_f64 v[44:45], v[48:49], v[44:45]
	v_fma_f64 v[48:49], s[22:23], v[180:181], v[208:209]
	v_add_f64 v[170:171], v[84:85], v[124:125]
	v_add_f64 v[176:177], v[86:87], v[126:127]
	s_mov_b32 s21, 0xbfef11f4
	v_mul_f64 v[210:211], v[182:183], s[28:29]
	s_mov_b32 s40, 0x24c2f84
	v_add_f64 v[46:47], v[48:49], v[46:47]
	v_add_f64 v[190:191], v[84:85], -v[124:125]
	v_mul_f64 v[214:215], v[176:177], s[20:21]
	v_fma_f64 v[48:49], v[170:171], s[20:21], -v[210:211]
	v_add_f64 v[192:193], v[102:103], -v[122:123]
	s_mov_b32 s24, 0xd0032e0c
	s_mov_b32 s41, 0x3fe5384d
	v_add_f64 v[44:45], v[48:49], v[44:45]
	v_fma_f64 v[48:49], s[28:29], v[190:191], v[214:215]
	v_add_f64 v[178:179], v[100:101], v[120:121]
	v_add_f64 v[184:185], v[102:103], v[122:123]
	s_mov_b32 s25, 0xbfe7f3cc
	v_mul_f64 v[218:219], v[192:193], s[40:41]
	v_add_f64 v[46:47], v[48:49], v[46:47]
	v_add_f64 v[204:205], v[100:101], -v[120:121]
	v_mul_f64 v[220:221], v[184:185], s[24:25]
	v_fma_f64 v[48:49], v[178:179], s[24:25], -v[218:219]
	v_add_f64 v[206:207], v[110:111], -v[118:119]
	s_mov_b32 s26, 0xebaa3ed8
	s_mov_b32 s35, 0x3fefc445
	;; [unrolled: 1-line block ×3, first 2 shown]
	v_add_f64 v[44:45], v[48:49], v[44:45]
	v_fma_f64 v[48:49], s[40:41], v[204:205], v[220:221]
	v_add_f64 v[186:187], v[116:117], v[108:109]
	v_add_f64 v[194:195], v[118:119], v[110:111]
	s_mov_b32 s27, 0x3fbedb7d
	v_mul_f64 v[224:225], v[206:207], s[34:35]
	v_add_f64 v[46:47], v[48:49], v[46:47]
	v_add_f64 v[216:217], v[108:109], -v[116:117]
	v_mul_f64 v[226:227], v[194:195], s[26:27]
	v_fma_f64 v[48:49], v[186:187], s[26:27], -v[224:225]
	v_add_f64 v[212:213], v[106:107], -v[114:115]
	s_mov_b32 s30, 0xe00740e9
	s_mov_b32 s37, 0x3fddbe06
	;; [unrolled: 1-line block ×3, first 2 shown]
	v_add_f64 v[44:45], v[48:49], v[44:45]
	v_fma_f64 v[48:49], s[34:35], v[216:217], v[226:227]
	v_add_f64 v[198:199], v[112:113], v[104:105]
	v_add_f64 v[202:203], v[114:115], v[106:107]
	s_mov_b32 s31, 0x3fec55a7
	v_mul_f64 v[228:229], v[212:213], s[36:37]
	v_add_f64 v[46:47], v[48:49], v[46:47]
	v_add_f64 v[222:223], v[104:105], -v[112:113]
	v_mul_f64 v[234:235], v[202:203], s[30:31]
	v_fma_f64 v[48:49], v[198:199], s[30:31], -v[228:229]
	v_add_f64 v[80:81], v[48:49], v[44:45]
	v_fma_f64 v[44:45], s[36:37], v[222:223], v[234:235]
	v_add_f64 v[82:83], v[44:45], v[46:47]
	s_waitcnt lgkmcnt(0)
	; wave barrier
	s_and_saveexec_b64 s[6:7], s[4:5]
	s_cbranch_execz .LBB0_17
; %bb.16:
	v_mul_f64 v[44:45], v[160:161], s[0:1]
	v_accvgpr_write_b32 a14, v44
	v_accvgpr_write_b32 a15, v45
	v_mul_f64 v[44:45], v[172:173], s[18:19]
	v_accvgpr_write_b32 a26, v44
	v_accvgpr_write_b32 a27, v45
	;; [unrolled: 3-line block ×9, first 2 shown]
	v_mul_f64 v[44:45], v[216:217], s[34:35]
	v_accvgpr_write_b32 a36, v44
	v_mul_f64 v[144:145], v[172:173], s[28:29]
	v_accvgpr_write_b32 a37, v45
	v_mul_f64 v[44:45], v[198:199], s[30:31]
	s_mov_b32 s39, 0xbfe5384d
	s_mov_b32 s38, s40
	v_mul_f64 v[140:141], v[180:181], s[36:37]
	v_fma_f64 v[146:147], s[20:21], v[162:163], v[144:145]
	v_accvgpr_write_b32 a28, v44
	s_mov_b32 s43, 0x3fea55e2
	s_mov_b32 s42, s18
	v_mul_f64 v[138:139], v[190:191], s[38:39]
	v_fma_f64 v[142:143], s[30:31], v[168:169], v[140:141]
	v_add_f64 v[146:147], v[90:91], v[146:147]
	v_mul_f64 v[230:231], v[166:167], s[28:29]
	v_accvgpr_write_b32 a29, v45
	v_mul_f64 v[44:45], v[222:223], s[36:37]
	v_mul_f64 v[136:137], v[204:205], s[42:43]
	v_fma_f64 v[134:135], s[24:25], v[176:177], v[138:139]
	v_add_f64 v[142:143], v[142:143], v[146:147]
	v_mul_f64 v[154:155], v[174:175], s[36:37]
	v_fma_f64 v[244:245], v[160:161], s[20:21], -v[230:231]
	v_accvgpr_write_b32 a38, v44
	v_mul_f64 v[48:49], v[216:217], s[22:23]
	v_accvgpr_write_b32 a24, v50
	v_fma_f64 v[132:133], s[0:1], v[184:185], v[136:137]
	v_add_f64 v[134:135], v[134:135], v[142:143]
	v_mul_f64 v[150:151], v[182:183], s[38:39]
	v_fma_f64 v[188:189], v[164:165], s[30:31], -v[154:155]
	v_add_f64 v[244:245], v[88:89], v[244:245]
	v_accvgpr_write_b32 a39, v45
	v_mul_f64 v[44:45], v[222:223], s[34:35]
	v_accvgpr_write_b32 a25, v51
	v_fma_f64 v[50:51], s[16:17], v[194:195], v[48:49]
	v_add_f64 v[132:133], v[132:133], v[134:135]
	v_mul_f64 v[146:147], v[192:193], s[42:43]
	v_fma_f64 v[152:153], v[170:171], s[24:25], -v[150:151]
	v_add_f64 v[188:189], v[188:189], v[244:245]
	v_fma_f64 v[46:47], s[26:27], v[202:203], v[44:45]
	v_add_f64 v[50:51], v[50:51], v[132:133]
	v_mul_f64 v[142:143], v[206:207], s[22:23]
	v_fma_f64 v[148:149], v[178:179], s[0:1], -v[146:147]
	v_add_f64 v[152:153], v[152:153], v[188:189]
	v_add_f64 v[134:135], v[46:47], v[50:51]
	v_mul_f64 v[46:47], v[212:213], s[34:35]
	v_fma_f64 v[132:133], v[186:187], s[16:17], -v[142:143]
	v_add_f64 v[148:149], v[148:149], v[152:153]
	v_fma_f64 v[50:51], v[198:199], s[26:27], -v[46:47]
	v_add_f64 v[132:133], v[132:133], v[148:149]
	v_add_f64 v[132:133], v[50:51], v[132:133]
	v_fma_f64 v[50:51], v[184:185], s[0:1], -v[136:137]
	v_fma_f64 v[136:137], v[176:177], s[24:25], -v[138:139]
	;; [unrolled: 1-line block ×4, first 2 shown]
	v_add_f64 v[140:141], v[90:91], v[140:141]
	v_add_f64 v[138:139], v[138:139], v[140:141]
	;; [unrolled: 1-line block ×3, first 2 shown]
	v_fma_f64 v[48:49], v[194:195], s[16:17], -v[48:49]
	v_add_f64 v[50:51], v[50:51], v[136:137]
	v_fma_f64 v[44:45], v[202:203], s[26:27], -v[44:45]
	v_add_f64 v[48:49], v[48:49], v[50:51]
	v_fmac_f64_e32 v[230:231], s[20:21], v[160:161]
	v_add_f64 v[138:139], v[44:45], v[48:49]
	v_fmac_f64_e32 v[154:155], s[30:31], v[164:165]
	;; [unrolled: 2-line block ×3, first 2 shown]
	v_add_f64 v[44:45], v[154:155], v[44:45]
	v_mul_f64 v[152:153], v[172:173], s[38:39]
	v_fmac_f64_e32 v[146:147], s[0:1], v[178:179]
	v_add_f64 v[44:45], v[150:151], v[44:45]
	v_mul_f64 v[148:149], v[180:181], s[34:35]
	v_fma_f64 v[154:155], s[24:25], v[162:163], v[152:153]
	v_accvgpr_write_b32 a6, v246
	v_fmac_f64_e32 v[142:143], s[16:17], v[186:187]
	v_add_f64 v[44:45], v[146:147], v[44:45]
	s_mov_b32 s45, 0x3fcea1e5
	s_mov_b32 s44, s28
	v_mul_f64 v[146:147], v[190:191], s[18:19]
	v_fma_f64 v[150:151], s[26:27], v[168:169], v[148:149]
	v_add_f64 v[154:155], v[90:91], v[154:155]
	v_accvgpr_write_b32 a7, v247
	v_accvgpr_write_b32 a8, v248
	;; [unrolled: 1-line block ×3, first 2 shown]
	v_mul_f64 v[248:249], v[166:167], s[38:39]
	v_accvgpr_write_b32 a10, v250
	v_add_f64 v[44:45], v[142:143], v[44:45]
	v_mul_f64 v[144:145], v[204:205], s[44:45]
	v_fma_f64 v[142:143], s[0:1], v[176:177], v[146:147]
	v_add_f64 v[150:151], v[150:151], v[154:155]
	v_mul_f64 v[232:233], v[174:175], s[34:35]
	v_accvgpr_write_b32 a11, v251
	v_accvgpr_write_b32 a12, v252
	;; [unrolled: 1-line block ×3, first 2 shown]
	v_fma_f64 v[252:253], v[160:161], s[24:25], -v[248:249]
	v_fmac_f64_e32 v[46:47], s[26:27], v[198:199]
	v_mul_f64 v[48:49], v[216:217], s[36:37]
	v_fma_f64 v[140:141], s[20:21], v[184:185], v[144:145]
	v_add_f64 v[142:143], v[142:143], v[150:151]
	v_mul_f64 v[230:231], v[182:183], s[18:19]
	v_fma_f64 v[246:247], v[164:165], s[26:27], -v[232:233]
	v_add_f64 v[252:253], v[88:89], v[252:253]
	v_add_f64 v[136:137], v[46:47], v[44:45]
	v_mul_f64 v[44:45], v[222:223], s[22:23]
	v_fma_f64 v[50:51], s[30:31], v[194:195], v[48:49]
	v_add_f64 v[140:141], v[140:141], v[142:143]
	v_mul_f64 v[154:155], v[192:193], s[44:45]
	v_fma_f64 v[244:245], v[170:171], s[0:1], -v[230:231]
	v_add_f64 v[246:247], v[246:247], v[252:253]
	v_fma_f64 v[46:47], s[16:17], v[202:203], v[44:45]
	v_add_f64 v[50:51], v[50:51], v[140:141]
	v_mul_f64 v[150:151], v[206:207], s[36:37]
	v_fma_f64 v[188:189], v[178:179], s[20:21], -v[154:155]
	v_add_f64 v[244:245], v[244:245], v[246:247]
	v_add_f64 v[142:143], v[46:47], v[50:51]
	v_mul_f64 v[46:47], v[212:213], s[22:23]
	v_fma_f64 v[140:141], v[186:187], s[30:31], -v[150:151]
	v_add_f64 v[188:189], v[188:189], v[244:245]
	v_fma_f64 v[50:51], v[198:199], s[16:17], -v[46:47]
	v_add_f64 v[140:141], v[140:141], v[188:189]
	v_add_f64 v[140:141], v[50:51], v[140:141]
	v_fma_f64 v[50:51], v[184:185], s[20:21], -v[144:145]
	v_fma_f64 v[144:145], v[176:177], s[0:1], -v[146:147]
	;; [unrolled: 1-line block ×4, first 2 shown]
	v_add_f64 v[148:149], v[90:91], v[148:149]
	v_add_f64 v[146:147], v[146:147], v[148:149]
	;; [unrolled: 1-line block ×3, first 2 shown]
	v_fma_f64 v[48:49], v[194:195], s[30:31], -v[48:49]
	v_add_f64 v[50:51], v[50:51], v[144:145]
	v_fma_f64 v[44:45], v[202:203], s[16:17], -v[44:45]
	v_add_f64 v[48:49], v[48:49], v[50:51]
	v_fmac_f64_e32 v[248:249], s[24:25], v[160:161]
	v_add_f64 v[146:147], v[44:45], v[48:49]
	v_fmac_f64_e32 v[232:233], s[26:27], v[164:165]
	;; [unrolled: 2-line block ×3, first 2 shown]
	v_add_f64 v[44:45], v[232:233], v[44:45]
	v_mul_f64 v[232:233], v[172:173], s[22:23]
	v_fmac_f64_e32 v[154:155], s[20:21], v[178:179]
	v_add_f64 v[44:45], v[230:231], v[44:45]
	v_mul_f64 v[188:189], v[180:181], s[40:41]
	v_fma_f64 v[244:245], s[16:17], v[162:163], v[232:233]
	v_fmac_f64_e32 v[150:151], s[30:31], v[186:187]
	v_add_f64 v[44:45], v[154:155], v[44:45]
	s_mov_b32 s35, 0xbfefc445
	v_mul_f64 v[154:155], v[190:191], s[36:37]
	v_fma_f64 v[230:231], s[24:25], v[168:169], v[188:189]
	v_add_f64 v[244:245], v[90:91], v[244:245]
	v_accvgpr_write_b32 a0, v236
	v_mul_f64 v[236:237], v[166:167], s[22:23]
	v_accvgpr_write_b32 a2, v238
	v_add_f64 v[44:45], v[150:151], v[44:45]
	v_mul_f64 v[152:153], v[204:205], s[34:35]
	v_fma_f64 v[150:151], s[30:31], v[176:177], v[154:155]
	v_add_f64 v[230:231], v[230:231], v[244:245]
	v_mul_f64 v[250:251], v[174:175], s[40:41]
	v_accvgpr_write_b32 a3, v239
	v_accvgpr_write_b32 a4, v240
	;; [unrolled: 1-line block ×3, first 2 shown]
	v_fma_f64 v[238:239], v[160:161], s[16:17], -v[236:237]
	v_fmac_f64_e32 v[46:47], s[16:17], v[198:199]
	v_mul_f64 v[48:49], v[216:217], s[44:45]
	v_fma_f64 v[148:149], s[26:27], v[184:185], v[152:153]
	v_add_f64 v[150:151], v[150:151], v[230:231]
	v_mul_f64 v[248:249], v[182:183], s[36:37]
	v_fma_f64 v[254:255], v[164:165], s[24:25], -v[250:251]
	v_add_f64 v[238:239], v[88:89], v[238:239]
	v_add_f64 v[144:145], v[46:47], v[44:45]
	v_mul_f64 v[44:45], v[222:223], s[42:43]
	v_fma_f64 v[50:51], s[20:21], v[194:195], v[48:49]
	v_add_f64 v[148:149], v[148:149], v[150:151]
	v_mul_f64 v[244:245], v[192:193], s[34:35]
	v_fma_f64 v[252:253], v[170:171], s[30:31], -v[248:249]
	v_add_f64 v[238:239], v[254:255], v[238:239]
	v_fma_f64 v[46:47], s[0:1], v[202:203], v[44:45]
	v_add_f64 v[50:51], v[50:51], v[148:149]
	v_mul_f64 v[230:231], v[206:207], s[44:45]
	v_fma_f64 v[246:247], v[178:179], s[26:27], -v[244:245]
	v_add_f64 v[238:239], v[252:253], v[238:239]
	v_add_f64 v[150:151], v[46:47], v[50:51]
	v_mul_f64 v[46:47], v[212:213], s[42:43]
	v_fma_f64 v[148:149], v[186:187], s[20:21], -v[230:231]
	v_add_f64 v[238:239], v[246:247], v[238:239]
	v_fma_f64 v[50:51], v[198:199], s[0:1], -v[46:47]
	v_add_f64 v[148:149], v[148:149], v[238:239]
	v_add_f64 v[148:149], v[50:51], v[148:149]
	v_fma_f64 v[50:51], v[184:185], s[26:27], -v[152:153]
	v_fma_f64 v[152:153], v[176:177], s[30:31], -v[154:155]
	;; [unrolled: 1-line block ×4, first 2 shown]
	v_add_f64 v[188:189], v[90:91], v[188:189]
	v_add_f64 v[154:155], v[154:155], v[188:189]
	;; [unrolled: 1-line block ×3, first 2 shown]
	v_fma_f64 v[48:49], v[194:195], s[20:21], -v[48:49]
	v_add_f64 v[50:51], v[50:51], v[152:153]
	v_fma_f64 v[44:45], v[202:203], s[0:1], -v[44:45]
	v_add_f64 v[48:49], v[48:49], v[50:51]
	v_fmac_f64_e32 v[236:237], s[16:17], v[160:161]
	v_add_f64 v[154:155], v[44:45], v[48:49]
	v_fmac_f64_e32 v[250:251], s[24:25], v[164:165]
	;; [unrolled: 2-line block ×3, first 2 shown]
	v_add_f64 v[44:45], v[250:251], v[44:45]
	v_mul_f64 v[246:247], v[172:173], s[34:35]
	v_fmac_f64_e32 v[244:245], s[26:27], v[178:179]
	v_add_f64 v[44:45], v[248:249], v[44:45]
	s_mov_b32 s41, 0x3fedeba7
	s_mov_b32 s40, s22
	v_mul_f64 v[238:239], v[180:181], s[28:29]
	v_fma_f64 v[248:249], s[26:27], v[162:163], v[246:247]
	v_mul_f64 v[52:53], v[166:167], s[34:35]
	v_add_f64 v[44:45], v[244:245], v[44:45]
	v_mul_f64 v[232:233], v[190:191], s[40:41]
	v_fma_f64 v[244:245], s[20:21], v[168:169], v[238:239]
	v_add_f64 v[248:249], v[90:91], v[248:249]
	v_mul_f64 v[240:241], v[174:175], s[28:29]
	v_fma_f64 v[54:55], v[160:161], s[26:27], -v[52:53]
	v_fmac_f64_e32 v[230:231], s[20:21], v[186:187]
	v_mul_f64 v[188:189], v[204:205], s[36:37]
	v_fma_f64 v[236:237], s[16:17], v[176:177], v[232:233]
	v_add_f64 v[244:245], v[244:245], v[248:249]
	v_mul_f64 v[252:253], v[182:183], s[40:41]
	v_fma_f64 v[242:243], v[164:165], s[20:21], -v[240:241]
	v_add_f64 v[54:55], v[88:89], v[54:55]
	v_fmac_f64_e32 v[46:47], s[0:1], v[198:199]
	v_add_f64 v[44:45], v[230:231], v[44:45]
	v_mul_f64 v[50:51], v[216:217], s[18:19]
	v_fma_f64 v[230:231], s[30:31], v[184:185], v[188:189]
	v_add_f64 v[236:237], v[236:237], v[244:245]
	v_mul_f64 v[248:249], v[192:193], s[36:37]
	v_fma_f64 v[254:255], v[170:171], s[16:17], -v[252:253]
	v_add_f64 v[54:55], v[242:243], v[54:55]
	v_add_f64 v[152:153], v[46:47], v[44:45]
	v_mul_f64 v[48:49], v[222:223], s[38:39]
	v_fma_f64 v[46:47], s[0:1], v[194:195], v[50:51]
	v_add_f64 v[230:231], v[230:231], v[236:237]
	v_mul_f64 v[236:237], v[206:207], s[18:19]
	v_fma_f64 v[250:251], v[178:179], s[30:31], -v[248:249]
	v_add_f64 v[54:55], v[254:255], v[54:55]
	v_fma_f64 v[44:45], s[24:25], v[202:203], v[48:49]
	v_add_f64 v[46:47], v[46:47], v[230:231]
	v_mul_f64 v[230:231], v[212:213], s[38:39]
	v_fma_f64 v[244:245], v[186:187], s[0:1], -v[236:237]
	v_add_f64 v[54:55], v[250:251], v[54:55]
	v_add_f64 v[46:47], v[44:45], v[46:47]
	v_fma_f64 v[44:45], v[198:199], s[24:25], -v[230:231]
	v_add_f64 v[54:55], v[244:245], v[54:55]
	v_add_f64 v[44:45], v[44:45], v[54:55]
	v_fma_f64 v[54:55], v[184:185], s[30:31], -v[188:189]
	v_fma_f64 v[188:189], v[176:177], s[16:17], -v[232:233]
	v_fma_f64 v[232:233], v[168:169], s[20:21], -v[238:239]
	v_fma_f64 v[238:239], v[162:163], s[26:27], -v[246:247]
	v_add_f64 v[238:239], v[90:91], v[238:239]
	v_add_f64 v[232:233], v[232:233], v[238:239]
	;; [unrolled: 1-line block ×4, first 2 shown]
	v_accvgpr_read_b32 v189, a35
	v_accvgpr_read_b32 v188, a34
	v_add_f64 v[188:189], v[220:221], -v[188:189]
	v_accvgpr_read_b32 v221, a33
	v_accvgpr_read_b32 v220, a32
	v_add_f64 v[214:215], v[214:215], -v[220:221]
	;; [unrolled: 3-line block ×4, first 2 shown]
	v_add_f64 v[196:197], v[90:91], v[196:197]
	v_add_f64 v[196:197], v[208:209], v[196:197]
	;; [unrolled: 1-line block ×4, first 2 shown]
	v_accvgpr_read_b32 v197, a19
	v_accvgpr_read_b32 v209, a17
	v_fma_f64 v[50:51], v[194:195], s[0:1], -v[50:51]
	v_accvgpr_read_b32 v196, a18
	v_accvgpr_read_b32 v208, a16
	v_fma_f64 v[48:49], v[202:203], s[24:25], -v[48:49]
	v_add_f64 v[50:51], v[50:51], v[54:55]
	v_fmac_f64_e32 v[52:53], s[26:27], v[160:161]
	v_accvgpr_read_b32 v55, a37
	v_add_f64 v[196:197], v[196:197], v[210:211]
	v_add_f64 v[200:201], v[208:209], v[200:201]
	v_accvgpr_read_b32 v209, a15
	v_accvgpr_read_b32 v211, a25
	v_add_f64 v[50:51], v[48:49], v[50:51]
	v_add_f64 v[48:49], v[88:89], v[52:53]
	v_accvgpr_read_b32 v53, a39
	v_accvgpr_read_b32 v54, a36
	;; [unrolled: 1-line block ×5, first 2 shown]
	v_add_f64 v[54:55], v[226:227], -v[54:55]
	v_add_f64 v[208:209], v[208:209], v[210:211]
	s_mov_b32 s37, 0xbfddbe06
	v_add_f64 v[52:53], v[234:235], -v[52:53]
	v_add_f64 v[54:55], v[54:55], v[188:189]
	v_accvgpr_read_b32 v189, a21
	v_add_f64 v[208:209], v[88:89], v[208:209]
	v_mul_f64 v[172:173], v[172:173], s[36:37]
	v_add_f64 v[220:221], v[52:53], v[54:55]
	v_accvgpr_read_b32 v55, a23
	v_accvgpr_read_b32 v188, a20
	v_add_f64 v[200:201], v[200:201], v[208:209]
	v_mul_f64 v[180:181], v[180:181], s[18:19]
	v_fma_f64 v[214:215], s[30:31], v[162:163], v[172:173]
	v_fma_f64 v[162:163], v[162:163], s[30:31], -v[172:173]
	v_accvgpr_read_b32 v53, a29
	v_accvgpr_read_b32 v54, a22
	v_add_f64 v[188:189], v[188:189], v[218:219]
	v_add_f64 v[196:197], v[196:197], v[200:201]
	v_mul_f64 v[208:209], v[190:191], s[34:35]
	v_fma_f64 v[210:211], s[0:1], v[168:169], v[180:181]
	v_fma_f64 v[168:169], v[168:169], s[0:1], -v[180:181]
	v_add_f64 v[162:163], v[90:91], v[162:163]
	v_accvgpr_read_b32 v52, a28
	v_add_f64 v[54:55], v[54:55], v[224:225]
	v_add_f64 v[188:189], v[188:189], v[196:197]
	v_mul_f64 v[200:201], v[204:205], s[22:23]
	v_fma_f64 v[190:191], s[26:27], v[176:177], v[208:209]
	v_add_f64 v[214:215], v[90:91], v[214:215]
	v_fma_f64 v[176:177], v[176:177], s[26:27], -v[208:209]
	v_add_f64 v[162:163], v[168:169], v[162:163]
	v_add_f64 v[52:53], v[52:53], v[228:229]
	;; [unrolled: 1-line block ×3, first 2 shown]
	v_mul_f64 v[196:197], v[216:217], s[38:39]
	v_fma_f64 v[204:205], s[16:17], v[184:185], v[200:201]
	v_add_f64 v[210:211], v[210:211], v[214:215]
	v_fma_f64 v[184:185], v[184:185], s[16:17], -v[200:201]
	v_add_f64 v[162:163], v[176:177], v[162:163]
	v_add_f64 v[218:219], v[52:53], v[54:55]
	v_mul_f64 v[52:53], v[222:223], s[28:29]
	v_fma_f64 v[188:189], s[24:25], v[194:195], v[196:197]
	v_add_f64 v[190:191], v[190:191], v[210:211]
	v_mul_f64 v[166:167], v[166:167], s[36:37]
	v_fma_f64 v[194:195], v[194:195], s[24:25], -v[196:197]
	v_add_f64 v[162:163], v[184:185], v[162:163]
	v_fma_f64 v[54:55], s[20:21], v[202:203], v[52:53]
	v_add_f64 v[190:191], v[204:205], v[190:191]
	v_mul_f64 v[174:175], v[174:175], s[18:19]
	v_fma_f64 v[216:217], v[160:161], s[30:31], -v[166:167]
	v_fma_f64 v[52:53], v[202:203], s[20:21], -v[52:53]
	v_add_f64 v[162:163], v[194:195], v[162:163]
	v_fmac_f64_e32 v[166:167], s[30:31], v[160:161]
	v_add_f64 v[188:189], v[188:189], v[190:191]
	v_mul_f64 v[182:183], v[182:183], s[34:35]
	v_fma_f64 v[214:215], v[164:165], s[0:1], -v[174:175]
	v_add_f64 v[162:163], v[52:53], v[162:163]
	v_fmac_f64_e32 v[174:175], s[0:1], v[164:165]
	v_add_f64 v[52:53], v[88:89], v[166:167]
	v_add_f64 v[190:191], v[54:55], v[188:189]
	v_mul_f64 v[54:55], v[212:213], s[28:29]
	v_mul_f64 v[192:193], v[192:193], s[22:23]
	v_fma_f64 v[212:213], v[170:171], s[26:27], -v[182:183]
	v_fmac_f64_e32 v[182:183], s[26:27], v[170:171]
	v_add_f64 v[52:53], v[174:175], v[52:53]
	v_mul_f64 v[204:205], v[206:207], s[38:39]
	v_fma_f64 v[210:211], v[178:179], s[16:17], -v[192:193]
	v_fmac_f64_e32 v[192:193], s[16:17], v[178:179]
	v_add_f64 v[52:53], v[182:183], v[52:53]
	v_fma_f64 v[206:207], v[186:187], s[24:25], -v[204:205]
	v_fmac_f64_e32 v[204:205], s[24:25], v[186:187]
	v_add_f64 v[52:53], v[192:193], v[52:53]
	;; [unrolled: 3-line block ×3, first 2 shown]
	v_add_f64 v[160:161], v[54:55], v[52:53]
	v_add_f64 v[52:53], v[90:91], v[94:95]
	;; [unrolled: 1-line block ×20, first 2 shown]
	v_fmac_f64_e32 v[240:241], s[20:21], v[164:165]
	v_add_f64 v[216:217], v[88:89], v[216:217]
	v_add_f64 v[52:53], v[116:117], v[52:53]
	v_fmac_f64_e32 v[252:253], s[16:17], v[170:171]
	v_add_f64 v[48:49], v[240:241], v[48:49]
	v_add_f64 v[214:215], v[214:215], v[216:217]
	;; [unrolled: 1-line block ×3, first 2 shown]
	v_fmac_f64_e32 v[248:249], s[30:31], v[178:179]
	v_add_f64 v[48:49], v[252:253], v[48:49]
	v_add_f64 v[212:213], v[212:213], v[214:215]
	;; [unrolled: 1-line block ×3, first 2 shown]
	v_fmac_f64_e32 v[236:237], s[0:1], v[186:187]
	v_accvgpr_read_b32 v241, a5
	v_accvgpr_read_b32 v253, a13
	v_add_f64 v[48:49], v[248:249], v[48:49]
	v_accvgpr_read_b32 v249, a9
	v_add_f64 v[210:211], v[210:211], v[212:213]
	v_add_f64 v[52:53], v[128:129], v[52:53]
	v_fmac_f64_e32 v[230:231], s[24:25], v[198:199]
	v_accvgpr_read_b32 v240, a4
	v_accvgpr_read_b32 v239, a3
	;; [unrolled: 1-line block ×9, first 2 shown]
	v_add_f64 v[48:49], v[236:237], v[48:49]
	v_accvgpr_read_b32 v236, a0
	v_add_f64 v[206:207], v[206:207], v[210:211]
	v_add_f64 v[0:1], v[0:1], v[52:53]
	v_lshlrev_b32_e32 v52, 4, v157
	v_add_f64 v[48:49], v[230:231], v[48:49]
	v_add_f64 v[188:189], v[188:189], v[206:207]
	ds_write_b128 v52, v[0:3]
	ds_write_b128 v52, v[160:163] offset:16
	ds_write_b128 v52, v[218:221] offset:32
	;; [unrolled: 1-line block ×12, first 2 shown]
.LBB0_17:
	s_or_b64 exec, exec, s[6:7]
	s_waitcnt lgkmcnt(0)
	; wave barrier
	s_waitcnt lgkmcnt(0)
	ds_read_b128 v[0:3], v156
	ds_read_b128 v[44:47], v156 offset:832
	ds_read_b128 v[48:51], v156 offset:1664
	;; [unrolled: 1-line block ×10, first 2 shown]
	s_waitcnt lgkmcnt(9)
	v_mul_f64 v[52:53], v[18:19], v[46:47]
	v_mul_f64 v[18:19], v[18:19], v[44:45]
	v_fmac_f64_e32 v[52:53], v[16:17], v[44:45]
	v_fma_f64 v[44:45], v[16:17], v[46:47], -v[18:19]
	s_waitcnt lgkmcnt(8)
	v_mul_f64 v[46:47], v[14:15], v[50:51]
	v_mul_f64 v[14:15], v[14:15], v[48:49]
	v_fmac_f64_e32 v[46:47], v[12:13], v[48:49]
	v_fma_f64 v[48:49], v[12:13], v[50:51], -v[14:15]
	;; [unrolled: 5-line block ×5, first 2 shown]
	s_waitcnt lgkmcnt(2)
	v_mul_f64 v[26:27], v[22:23], v[106:107]
	v_mul_f64 v[12:13], v[22:23], v[104:105]
	v_add_f64 v[14:15], v[2:3], v[44:45]
	v_mul_f64 v[16:17], v[6:7], v[90:91]
	v_mul_f64 v[6:7], v[6:7], v[88:89]
	v_fmac_f64_e32 v[26:27], v[20:21], v[104:105]
	v_fma_f64 v[20:21], v[20:21], v[106:107], -v[12:13]
	s_waitcnt lgkmcnt(1)
	v_mul_f64 v[12:13], v[42:43], v[108:109]
	v_add_f64 v[14:15], v[14:15], v[48:49]
	v_fma_f64 v[18:19], v[4:5], v[90:91], -v[6:7]
	v_mul_f64 v[6:7], v[34:35], v[92:93]
	v_fma_f64 v[30:31], v[40:41], v[110:111], -v[12:13]
	s_waitcnt lgkmcnt(0)
	v_mul_f64 v[12:13], v[38:39], v[112:113]
	v_add_f64 v[14:15], v[14:15], v[54:55]
	v_fmac_f64_e32 v[16:17], v[4:5], v[88:89]
	v_mul_f64 v[4:5], v[34:35], v[94:95]
	v_fma_f64 v[6:7], v[32:33], v[94:95], -v[6:7]
	v_fma_f64 v[34:35], v[36:37], v[114:115], -v[12:13]
	v_add_f64 v[12:13], v[0:1], v[52:53]
	v_add_f64 v[14:15], v[14:15], v[18:19]
	;; [unrolled: 1-line block ×6, first 2 shown]
	v_fmac_f64_e32 v[4:5], v[32:33], v[92:93]
	v_add_f64 v[12:13], v[12:13], v[16:17]
	v_add_f64 v[14:15], v[14:15], v[24:25]
	;; [unrolled: 1-line block ×4, first 2 shown]
	v_mul_f64 v[32:33], v[38:39], v[114:115]
	v_add_f64 v[12:13], v[12:13], v[8:9]
	v_add_f64 v[14:15], v[14:15], v[30:31]
	s_mov_b32 s22, 0xf8bb580b
	s_mov_b32 s6, 0x8eee2c13
	;; [unrolled: 1-line block ×5, first 2 shown]
	v_mul_f64 v[22:23], v[42:43], v[110:111]
	v_fmac_f64_e32 v[32:33], v[36:37], v[112:113]
	v_add_f64 v[12:13], v[12:13], v[28:29]
	v_add_f64 v[14:15], v[14:15], v[34:35]
	;; [unrolled: 1-line block ×3, first 2 shown]
	v_add_f64 v[34:35], v[44:45], -v[34:35]
	s_mov_b32 s23, 0xbfe14ced
	s_mov_b32 s24, 0x8764f0ba
	;; [unrolled: 1-line block ×10, first 2 shown]
	v_fmac_f64_e32 v[22:23], v[40:41], v[108:109]
	v_add_f64 v[12:13], v[12:13], v[26:27]
	v_add_f64 v[36:37], v[52:53], v[32:33]
	v_mul_f64 v[40:41], v[34:35], s[22:23]
	s_mov_b32 s25, 0x3feaeb8c
	v_mul_f64 v[84:85], v[34:35], s[6:7]
	s_mov_b32 s17, 0x3fda9628
	;; [unrolled: 2-line block ×5, first 2 shown]
	v_add_f64 v[12:13], v[12:13], v[22:23]
	v_fma_f64 v[42:43], s[24:25], v[36:37], v[40:41]
	v_fma_f64 v[40:41], v[36:37], s[24:25], -v[40:41]
	v_fma_f64 v[86:87], s[16:17], v[36:37], v[84:85]
	v_fma_f64 v[84:85], v[36:37], s[16:17], -v[84:85]
	;; [unrolled: 2-line block ×5, first 2 shown]
	v_add_f64 v[12:13], v[12:13], v[32:33]
	v_add_f64 v[32:33], v[52:53], -v[32:33]
	v_add_f64 v[42:43], v[0:1], v[42:43]
	v_mul_f64 v[44:45], v[38:39], s[24:25]
	s_mov_b32 s27, 0x3fe14ced
	s_mov_b32 s26, s22
	v_add_f64 v[40:41], v[0:1], v[40:41]
	v_add_f64 v[86:87], v[0:1], v[86:87]
	v_mul_f64 v[88:89], v[38:39], s[16:17]
	s_mov_b32 s19, 0x3fed1bb4
	s_mov_b32 s18, s6
	v_add_f64 v[84:85], v[0:1], v[84:85]
	;; [unrolled: 5-line block ×5, first 2 shown]
	v_add_f64 v[34:35], v[48:49], v[30:31]
	v_add_f64 v[30:31], v[48:49], -v[30:31]
	v_fma_f64 v[52:53], s[26:27], v[32:33], v[44:45]
	v_fmac_f64_e32 v[44:45], s[22:23], v[32:33]
	v_fma_f64 v[90:91], s[18:19], v[32:33], v[88:89]
	v_fmac_f64_e32 v[88:89], s[6:7], v[32:33]
	;; [unrolled: 2-line block ×5, first 2 shown]
	v_add_f64 v[32:33], v[46:47], v[22:23]
	v_mul_f64 v[36:37], v[30:31], s[6:7]
	v_add_f64 v[52:53], v[2:3], v[52:53]
	v_add_f64 v[44:45], v[2:3], v[44:45]
	;; [unrolled: 1-line block ×10, first 2 shown]
	v_fma_f64 v[38:39], s[16:17], v[32:33], v[36:37]
	v_add_f64 v[22:23], v[46:47], -v[22:23]
	v_add_f64 v[38:39], v[38:39], v[42:43]
	v_mul_f64 v[42:43], v[34:35], s[16:17]
	v_fma_f64 v[46:47], s[18:19], v[22:23], v[42:43]
	v_fma_f64 v[36:37], v[32:33], s[16:17], -v[36:37]
	v_fmac_f64_e32 v[42:43], s[6:7], v[22:23]
	v_add_f64 v[36:37], v[36:37], v[40:41]
	v_add_f64 v[40:41], v[42:43], v[44:45]
	v_mul_f64 v[42:43], v[30:31], s[30:31]
	v_fma_f64 v[44:45], s[34:35], v[32:33], v[42:43]
	v_fma_f64 v[42:43], v[32:33], s[34:35], -v[42:43]
	v_add_f64 v[42:43], v[42:43], v[84:85]
	v_mul_f64 v[84:85], v[30:31], s[42:43]
	v_add_f64 v[44:45], v[44:45], v[86:87]
	v_mul_f64 v[48:49], v[34:35], s[34:35]
	v_fma_f64 v[86:87], s[40:41], v[32:33], v[84:85]
	v_fma_f64 v[84:85], v[32:33], s[40:41], -v[84:85]
	v_add_f64 v[46:47], v[46:47], v[52:53]
	v_fma_f64 v[52:53], s[36:37], v[22:23], v[48:49]
	v_fmac_f64_e32 v[48:49], s[30:31], v[22:23]
	v_add_f64 v[84:85], v[84:85], v[92:93]
	v_mul_f64 v[92:93], v[30:31], s[28:29]
	v_add_f64 v[48:49], v[48:49], v[88:89]
	v_add_f64 v[86:87], v[86:87], v[94:95]
	v_mul_f64 v[88:89], v[34:35], s[40:41]
	v_fma_f64 v[94:95], s[20:21], v[32:33], v[92:93]
	v_fma_f64 v[92:93], v[32:33], s[20:21], -v[92:93]
	v_mul_f64 v[30:31], v[30:31], s[26:27]
	v_add_f64 v[52:53], v[52:53], v[90:91]
	v_fma_f64 v[90:91], s[38:39], v[22:23], v[88:89]
	v_fmac_f64_e32 v[88:89], s[42:43], v[22:23]
	v_add_f64 v[92:93], v[92:93], v[100:101]
	v_fma_f64 v[100:101], s[24:25], v[32:33], v[30:31]
	v_fma_f64 v[30:31], v[32:33], s[24:25], -v[30:31]
	v_add_f64 v[88:89], v[88:89], v[96:97]
	v_mul_f64 v[96:97], v[34:35], s[20:21]
	v_mul_f64 v[34:35], v[34:35], s[24:25]
	v_add_f64 v[0:1], v[30:31], v[0:1]
	v_add_f64 v[30:31], v[54:55], v[20:21]
	v_add_f64 v[20:21], v[54:55], -v[20:21]
	v_add_f64 v[90:91], v[90:91], v[98:99]
	v_add_f64 v[94:95], v[94:95], v[102:103]
	v_fma_f64 v[98:99], s[0:1], v[22:23], v[96:97]
	v_fmac_f64_e32 v[96:97], s[28:29], v[22:23]
	v_fma_f64 v[102:103], s[22:23], v[22:23], v[34:35]
	v_fmac_f64_e32 v[34:35], s[26:27], v[22:23]
	v_add_f64 v[22:23], v[50:51], v[26:27]
	v_mul_f64 v[32:33], v[20:21], s[0:1]
	v_add_f64 v[2:3], v[34:35], v[2:3]
	v_fma_f64 v[34:35], s[20:21], v[22:23], v[32:33]
	v_add_f64 v[26:27], v[50:51], -v[26:27]
	v_add_f64 v[34:35], v[34:35], v[38:39]
	v_mul_f64 v[38:39], v[30:31], s[20:21]
	v_fma_f64 v[50:51], s[28:29], v[26:27], v[38:39]
	v_fma_f64 v[32:33], v[22:23], s[20:21], -v[32:33]
	v_fmac_f64_e32 v[38:39], s[0:1], v[26:27]
	v_add_f64 v[32:33], v[32:33], v[36:37]
	v_add_f64 v[36:37], v[38:39], v[40:41]
	v_mul_f64 v[38:39], v[20:21], s[42:43]
	v_fma_f64 v[40:41], s[40:41], v[22:23], v[38:39]
	v_add_f64 v[40:41], v[40:41], v[44:45]
	v_mul_f64 v[44:45], v[30:31], s[40:41]
	v_add_f64 v[46:47], v[50:51], v[46:47]
	v_fma_f64 v[50:51], s[38:39], v[26:27], v[44:45]
	v_fma_f64 v[38:39], v[22:23], s[40:41], -v[38:39]
	v_fmac_f64_e32 v[44:45], s[42:43], v[26:27]
	v_add_f64 v[38:39], v[38:39], v[42:43]
	v_add_f64 v[42:43], v[44:45], v[48:49]
	v_mul_f64 v[44:45], v[20:21], s[18:19]
	v_fma_f64 v[48:49], s[16:17], v[22:23], v[44:45]
	v_fma_f64 v[44:45], v[22:23], s[16:17], -v[44:45]
	v_add_f64 v[44:45], v[44:45], v[84:85]
	v_mul_f64 v[84:85], v[20:21], s[22:23]
	v_add_f64 v[50:51], v[50:51], v[52:53]
	v_add_f64 v[48:49], v[48:49], v[86:87]
	v_mul_f64 v[52:53], v[30:31], s[16:17]
	v_fma_f64 v[86:87], s[24:25], v[22:23], v[84:85]
	v_fma_f64 v[84:85], v[22:23], s[24:25], -v[84:85]
	v_mul_f64 v[20:21], v[20:21], s[30:31]
	v_fma_f64 v[54:55], s[6:7], v[26:27], v[52:53]
	v_fmac_f64_e32 v[52:53], s[18:19], v[26:27]
	v_add_f64 v[84:85], v[84:85], v[92:93]
	v_fma_f64 v[92:93], s[34:35], v[22:23], v[20:21]
	v_fma_f64 v[20:21], v[22:23], s[34:35], -v[20:21]
	v_add_f64 v[22:23], v[18:19], v[24:25]
	v_add_f64 v[18:19], v[18:19], -v[24:25]
	v_add_f64 v[52:53], v[52:53], v[88:89]
	v_mul_f64 v[88:89], v[30:31], s[24:25]
	v_mul_f64 v[30:31], v[30:31], s[34:35]
	v_add_f64 v[0:1], v[20:21], v[0:1]
	v_add_f64 v[20:21], v[16:17], v[28:29]
	v_mul_f64 v[24:25], v[18:19], s[30:31]
	v_add_f64 v[54:55], v[54:55], v[90:91]
	v_add_f64 v[86:87], v[86:87], v[94:95]
	v_fma_f64 v[90:91], s[26:27], v[26:27], v[88:89]
	v_fmac_f64_e32 v[88:89], s[22:23], v[26:27]
	v_fma_f64 v[94:95], s[36:37], v[26:27], v[30:31]
	v_fmac_f64_e32 v[30:31], s[30:31], v[26:27]
	v_add_f64 v[16:17], v[16:17], -v[28:29]
	v_fma_f64 v[26:27], s[34:35], v[20:21], v[24:25]
	v_mul_f64 v[28:29], v[22:23], s[34:35]
	v_fma_f64 v[24:25], v[20:21], s[34:35], -v[24:25]
	v_add_f64 v[2:3], v[30:31], v[2:3]
	v_fma_f64 v[30:31], s[36:37], v[16:17], v[28:29]
	v_add_f64 v[24:25], v[24:25], v[32:33]
	v_fmac_f64_e32 v[28:29], s[30:31], v[16:17]
	v_mul_f64 v[32:33], v[18:19], s[28:29]
	v_add_f64 v[26:27], v[26:27], v[34:35]
	v_add_f64 v[28:29], v[28:29], v[36:37]
	v_fma_f64 v[34:35], s[20:21], v[20:21], v[32:33]
	v_mul_f64 v[36:37], v[22:23], s[20:21]
	v_fma_f64 v[32:33], v[20:21], s[20:21], -v[32:33]
	v_add_f64 v[34:35], v[34:35], v[40:41]
	v_fma_f64 v[40:41], s[0:1], v[16:17], v[36:37]
	v_add_f64 v[32:33], v[32:33], v[38:39]
	v_fmac_f64_e32 v[36:37], s[28:29], v[16:17]
	v_mul_f64 v[38:39], v[18:19], s[22:23]
	v_add_f64 v[30:31], v[30:31], v[46:47]
	v_add_f64 v[36:37], v[36:37], v[42:43]
	v_fma_f64 v[42:43], s[24:25], v[20:21], v[38:39]
	v_mul_f64 v[46:47], v[22:23], s[24:25]
	v_add_f64 v[42:43], v[42:43], v[48:49]
	v_fma_f64 v[48:49], s[26:27], v[16:17], v[46:47]
	v_fma_f64 v[38:39], v[20:21], s[24:25], -v[38:39]
	v_fmac_f64_e32 v[46:47], s[22:23], v[16:17]
	v_add_f64 v[38:39], v[38:39], v[44:45]
	v_add_f64 v[44:45], v[46:47], v[52:53]
	v_mul_f64 v[46:47], v[18:19], s[38:39]
	v_add_f64 v[98:99], v[98:99], v[106:107]
	v_add_f64 v[96:97], v[96:97], v[104:105]
	;; [unrolled: 1-line block ×4, first 2 shown]
	v_fma_f64 v[50:51], s[40:41], v[20:21], v[46:47]
	v_mul_f64 v[52:53], v[22:23], s[40:41]
	v_fma_f64 v[46:47], v[20:21], s[40:41], -v[46:47]
	v_mul_f64 v[18:19], v[18:19], s[18:19]
	v_add_f64 v[102:103], v[102:103], v[110:111]
	v_add_f64 v[90:91], v[90:91], v[98:99]
	;; [unrolled: 1-line block ×5, first 2 shown]
	v_fma_f64 v[54:55], s[42:43], v[16:17], v[52:53]
	v_add_f64 v[46:47], v[46:47], v[84:85]
	v_fmac_f64_e32 v[52:53], s[38:39], v[16:17]
	v_fma_f64 v[84:85], s[16:17], v[20:21], v[18:19]
	v_mul_f64 v[22:23], v[22:23], s[16:17]
	v_fma_f64 v[18:19], v[20:21], s[16:17], -v[18:19]
	v_add_f64 v[98:99], v[6:7], -v[10:11]
	v_add_f64 v[94:95], v[94:95], v[102:103]
	v_add_f64 v[50:51], v[50:51], v[86:87]
	v_add_f64 v[52:53], v[52:53], v[88:89]
	v_add_f64 v[84:85], v[84:85], v[92:93]
	v_fma_f64 v[86:87], s[6:7], v[16:17], v[22:23]
	v_add_f64 v[88:89], v[18:19], v[0:1]
	v_fmac_f64_e32 v[22:23], s[18:19], v[16:17]
	v_add_f64 v[92:93], v[4:5], v[8:9]
	v_mul_f64 v[0:1], v[98:99], s[38:39]
	v_add_f64 v[54:55], v[54:55], v[90:91]
	v_add_f64 v[86:87], v[86:87], v[94:95]
	;; [unrolled: 1-line block ×4, first 2 shown]
	v_fma_f64 v[2:3], s[40:41], v[92:93], v[0:1]
	v_add_f64 v[96:97], v[4:5], -v[8:9]
	v_add_f64 v[16:17], v[2:3], v[26:27]
	v_mul_f64 v[2:3], v[94:95], s[40:41]
	v_fma_f64 v[4:5], s[42:43], v[96:97], v[2:3]
	v_fma_f64 v[0:1], v[92:93], s[40:41], -v[0:1]
	v_add_f64 v[18:19], v[4:5], v[30:31]
	v_add_f64 v[4:5], v[0:1], v[24:25]
	v_fmac_f64_e32 v[2:3], s[38:39], v[96:97]
	v_mul_f64 v[0:1], v[98:99], s[26:27]
	v_add_f64 v[6:7], v[2:3], v[28:29]
	v_fma_f64 v[2:3], s[24:25], v[92:93], v[0:1]
	v_add_f64 v[20:21], v[2:3], v[34:35]
	v_mul_f64 v[2:3], v[94:95], s[24:25]
	v_fma_f64 v[8:9], s[22:23], v[96:97], v[2:3]
	v_fma_f64 v[0:1], v[92:93], s[24:25], -v[0:1]
	v_add_f64 v[22:23], v[8:9], v[40:41]
	v_add_f64 v[8:9], v[0:1], v[32:33]
	v_fmac_f64_e32 v[2:3], s[26:27], v[96:97]
	v_mul_f64 v[0:1], v[98:99], s[30:31]
	v_add_f64 v[10:11], v[2:3], v[36:37]
	v_fma_f64 v[2:3], s[34:35], v[92:93], v[0:1]
	v_add_f64 v[24:25], v[2:3], v[42:43]
	v_mul_f64 v[2:3], v[94:95], s[34:35]
	v_fma_f64 v[0:1], v[92:93], s[34:35], -v[0:1]
	v_mul_f64 v[32:33], v[98:99], s[18:19]
	v_mul_f64 v[34:35], v[94:95], s[16:17]
	;; [unrolled: 1-line block ×4, first 2 shown]
	v_fma_f64 v[26:27], s[36:37], v[96:97], v[2:3]
	v_add_f64 v[0:1], v[0:1], v[38:39]
	v_fma_f64 v[28:29], s[16:17], v[92:93], v[32:33]
	v_fma_f64 v[30:31], s[6:7], v[96:97], v[34:35]
	v_fma_f64 v[32:33], v[92:93], s[16:17], -v[32:33]
	v_fmac_f64_e32 v[34:35], s[18:19], v[96:97]
	v_fma_f64 v[36:37], s[20:21], v[92:93], v[40:41]
	v_fma_f64 v[38:39], s[28:29], v[96:97], v[42:43]
	v_fma_f64 v[40:41], v[92:93], s[20:21], -v[40:41]
	v_fmac_f64_e32 v[42:43], s[0:1], v[96:97]
	v_add_f64 v[26:27], v[26:27], v[48:49]
	v_fmac_f64_e32 v[2:3], s[30:31], v[96:97]
	v_add_f64 v[28:29], v[28:29], v[50:51]
	v_add_f64 v[30:31], v[30:31], v[54:55]
	;; [unrolled: 1-line block ×9, first 2 shown]
	s_waitcnt lgkmcnt(0)
	; wave barrier
	ds_write_b128 v158, v[12:15]
	ds_write_b128 v158, v[16:19] offset:208
	ds_write_b128 v158, v[20:23] offset:416
	;; [unrolled: 1-line block ×10, first 2 shown]
	s_waitcnt lgkmcnt(0)
	; wave barrier
	s_waitcnt lgkmcnt(0)
	ds_read_b128 v[16:19], v156
	ds_read_b128 v[12:15], v156 offset:832
	ds_read_b128 v[40:43], v156 offset:2288
	;; [unrolled: 1-line block ×7, first 2 shown]
	s_and_saveexec_b64 s[0:1], s[2:3]
	s_cbranch_execz .LBB0_19
; %bb.18:
	ds_read_b128 v[0:3], v156 offset:1664
	ds_read_b128 v[8:11], v156 offset:3952
	;; [unrolled: 1-line block ×4, first 2 shown]
.LBB0_19:
	s_or_b64 exec, exec, s[0:1]
	s_waitcnt lgkmcnt(5)
	v_mul_f64 v[44:45], v[66:67], v[42:43]
	v_fmac_f64_e32 v[44:45], v[64:65], v[40:41]
	v_mul_f64 v[40:41], v[66:67], v[40:41]
	v_fma_f64 v[40:41], v[64:65], v[42:43], -v[40:41]
	s_waitcnt lgkmcnt(3)
	v_mul_f64 v[42:43], v[62:63], v[38:39]
	v_fmac_f64_e32 v[42:43], v[60:61], v[36:37]
	v_mul_f64 v[36:37], v[62:63], v[36:37]
	v_fma_f64 v[36:37], v[60:61], v[38:39], -v[36:37]
	;; [unrolled: 5-line block ×3, first 2 shown]
	v_mul_f64 v[34:35], v[70:71], v[30:31]
	v_mul_f64 v[48:49], v[78:79], v[26:27]
	s_waitcnt lgkmcnt(0)
	v_mul_f64 v[52:53], v[74:75], v[22:23]
	v_fmac_f64_e32 v[34:35], v[68:69], v[28:29]
	v_mul_f64 v[28:29], v[70:71], v[28:29]
	v_fmac_f64_e32 v[48:49], v[76:77], v[24:25]
	;; [unrolled: 2-line block ×3, first 2 shown]
	v_mul_f64 v[20:21], v[74:75], v[20:21]
	v_fma_f64 v[46:47], v[68:69], v[30:31], -v[28:29]
	v_fma_f64 v[50:51], v[76:77], v[26:27], -v[24:25]
	;; [unrolled: 1-line block ×3, first 2 shown]
	v_add_f64 v[28:29], v[16:17], -v[42:43]
	v_add_f64 v[26:27], v[44:45], -v[38:39]
	;; [unrolled: 1-line block ×3, first 2 shown]
	v_fma_f64 v[20:21], v[16:17], 2.0, -v[28:29]
	v_add_f64 v[24:25], v[40:41], -v[32:33]
	v_fma_f64 v[16:17], v[44:45], 2.0, -v[26:27]
	v_add_f64 v[42:43], v[14:15], -v[50:51]
	v_add_f64 v[44:45], v[46:47], -v[54:55]
	v_fma_f64 v[22:23], v[18:19], 2.0, -v[30:31]
	v_fma_f64 v[18:19], v[40:41], 2.0, -v[24:25]
	v_add_f64 v[40:41], v[12:13], -v[48:49]
	v_fma_f64 v[36:37], v[14:15], 2.0, -v[42:43]
	v_add_f64 v[38:39], v[34:35], -v[52:53]
	;; [unrolled: 2-line block ×3, first 2 shown]
	v_add_f64 v[18:19], v[22:23], -v[18:19]
	v_fma_f64 v[32:33], v[12:13], 2.0, -v[40:41]
	v_fma_f64 v[12:13], v[34:35], 2.0, -v[38:39]
	v_add_f64 v[14:15], v[36:37], -v[14:15]
	v_fma_f64 v[20:21], v[20:21], 2.0, -v[16:17]
	v_fma_f64 v[22:23], v[22:23], 2.0, -v[18:19]
	v_add_f64 v[24:25], v[28:29], v[24:25]
	v_add_f64 v[26:27], v[30:31], -v[26:27]
	v_add_f64 v[12:13], v[32:33], -v[12:13]
	v_fma_f64 v[34:35], v[36:37], 2.0, -v[14:15]
	v_add_f64 v[36:37], v[40:41], v[44:45]
	v_add_f64 v[38:39], v[42:43], -v[38:39]
	v_fma_f64 v[28:29], v[28:29], 2.0, -v[24:25]
	v_fma_f64 v[30:31], v[30:31], 2.0, -v[26:27]
	;; [unrolled: 1-line block ×5, first 2 shown]
	ds_write_b128 v156, v[20:23]
	ds_write_b128 v156, v[28:31] offset:2288
	ds_write_b128 v156, v[16:19] offset:4576
	;; [unrolled: 1-line block ×7, first 2 shown]
	s_and_saveexec_b64 s[0:1], s[2:3]
	s_cbranch_execz .LBB0_21
; %bb.20:
	v_mul_f64 v[12:13], v[252:253], v[4:5]
	v_fma_f64 v[12:13], v[250:251], v[6:7], -v[12:13]
	v_mul_f64 v[6:7], v[252:253], v[6:7]
	v_mul_f64 v[20:21], v[248:249], v[10:11]
	v_fmac_f64_e32 v[6:7], v[250:251], v[4:5]
	v_add_f64 v[18:19], v[2:3], -v[12:13]
	v_fmac_f64_e32 v[20:21], v[246:247], v[8:9]
	v_mul_f64 v[12:13], v[240:241], v[82:83]
	v_add_f64 v[4:5], v[0:1], -v[6:7]
	v_mul_f64 v[6:7], v[248:249], v[8:9]
	v_mul_f64 v[8:9], v[240:241], v[80:81]
	v_fmac_f64_e32 v[12:13], v[238:239], v[80:81]
	v_fma_f64 v[6:7], v[246:247], v[10:11], -v[6:7]
	v_fma_f64 v[8:9], v[238:239], v[82:83], -v[8:9]
	v_add_f64 v[22:23], v[20:21], -v[12:13]
	v_add_f64 v[8:9], v[6:7], -v[8:9]
	;; [unrolled: 1-line block ×3, first 2 shown]
	v_add_f64 v[10:11], v[4:5], v[8:9]
	v_fma_f64 v[16:17], v[18:19], 2.0, -v[12:13]
	v_fma_f64 v[14:15], v[4:5], 2.0, -v[10:11]
	;; [unrolled: 1-line block ×6, first 2 shown]
	v_add_f64 v[2:3], v[18:19], -v[2:3]
	v_add_f64 v[0:1], v[4:5], -v[0:1]
	v_fma_f64 v[6:7], v[18:19], 2.0, -v[2:3]
	v_fma_f64 v[4:5], v[4:5], 2.0, -v[0:1]
	ds_write_b128 v156, v[4:7] offset:1664
	ds_write_b128 v156, v[14:17] offset:3952
	;; [unrolled: 1-line block ×4, first 2 shown]
.LBB0_21:
	s_or_b64 exec, exec, s[0:1]
	s_waitcnt lgkmcnt(0)
	; wave barrier
	s_waitcnt lgkmcnt(0)
	s_and_b64 exec, exec, s[4:5]
	s_cbranch_execz .LBB0_23
; %bb.22:
	global_load_dwordx4 v[0:3], v156, s[12:13]
	global_load_dwordx4 v[4:7], v156, s[12:13] offset:704
	global_load_dwordx4 v[8:11], v156, s[12:13] offset:1408
	;; [unrolled: 1-line block ×5, first 2 shown]
	v_mov_b32_e32 v157, 0
	v_mad_u64_u32 v[82:83], s[2:3], s8, v159, 0
	s_movk_i32 s3, 0x1000
	v_lshl_add_u64 v[36:37], s[12:13], 0, v[156:157]
	v_add_co_u32_e32 v84, vcc, s3, v36
	ds_read_b128 v[32:35], v156
	ds_read_b128 v[24:27], v156 offset:704
	v_addc_co_u32_e32 v85, vcc, 0, v37, vcc
	global_load_dwordx4 v[28:31], v[84:85], off offset:128
	v_mad_u64_u32 v[40:41], s[0:1], s10, v236, 0
	v_mov_b32_e32 v62, v41
	ds_read_b128 v[42:45], v156 offset:1408
	ds_read_b128 v[46:49], v156 offset:2112
	ds_read_b128 v[50:53], v156 offset:2816
	ds_read_b128 v[54:57], v156 offset:3520
	ds_read_b128 v[58:61], v156 offset:8448
	v_mad_u64_u32 v[68:69], s[4:5], s11, v236, v[62:63]
	global_load_dwordx4 v[62:65], v[84:85], off offset:832
	v_mov_b32_e32 v66, v83
	v_mad_u64_u32 v[66:67], s[4:5], s9, v159, v[66:67]
	v_mov_b32_e32 v41, v68
	v_mov_b32_e32 v83, v66
	global_load_dwordx4 v[66:69], v[84:85], off offset:1536
	global_load_dwordx4 v[70:73], v[84:85], off offset:2240
	;; [unrolled: 1-line block ×4, first 2 shown]
	v_mov_b32_e32 v38, s14
	v_mov_b32_e32 v39, s15
	v_lshl_add_u64 v[38:39], v[40:41], 4, v[38:39]
	v_mov_b32_e32 v96, 0x2c0
	v_lshl_add_u64 v[38:39], v[82:83], 4, v[38:39]
	s_mul_i32 s2, s9, 0x2c0
	v_mad_u64_u32 v[40:41], s[4:5], s8, v96, v[38:39]
	v_add_u32_e32 v41, s2, v41
	s_mov_b32 s0, 0x55ee191
	v_mad_u64_u32 v[82:83], s[4:5], s8, v96, v[40:41]
	s_mov_b32 s1, 0x3f5ca4b3
	v_add_u32_e32 v83, s2, v83
	v_mad_u64_u32 v[84:85], s[4:5], s8, v96, v[82:83]
	v_add_u32_e32 v85, s2, v85
	s_movk_i32 s3, 0x2000
	s_waitcnt vmcnt(11) lgkmcnt(6)
	v_mul_f64 v[86:87], v[34:35], v[2:3]
	v_mul_f64 v[2:3], v[32:33], v[2:3]
	s_waitcnt vmcnt(10) lgkmcnt(5)
	v_mul_f64 v[88:89], v[26:27], v[6:7]
	v_mul_f64 v[6:7], v[24:25], v[6:7]
	;; [unrolled: 3-line block ×4, first 2 shown]
	v_fmac_f64_e32 v[86:87], v[32:33], v[0:1]
	v_fma_f64 v[2:3], v[0:1], v[34:35], -v[2:3]
	v_fmac_f64_e32 v[88:89], v[24:25], v[4:5]
	v_fma_f64 v[6:7], v[4:5], v[26:27], -v[6:7]
	;; [unrolled: 2-line block ×4, first 2 shown]
	v_mul_f64 v[0:1], v[86:87], s[0:1]
	v_mul_f64 v[2:3], v[2:3], s[0:1]
	s_waitcnt vmcnt(7) lgkmcnt(2)
	v_mul_f64 v[94:95], v[52:53], v[18:19]
	v_mul_f64 v[4:5], v[88:89], s[0:1]
	;; [unrolled: 1-line block ×7, first 2 shown]
	global_store_dwordx4 v[38:39], v[0:3], off
	global_store_dwordx4 v[40:41], v[4:7], off
	;; [unrolled: 1-line block ×4, first 2 shown]
	v_mul_f64 v[2:3], v[50:51], v[18:19]
	v_fmac_f64_e32 v[94:95], v[50:51], v[16:17]
	v_fma_f64 v[2:3], v[16:17], v[52:53], -v[2:3]
	v_mad_u64_u32 v[8:9], s[4:5], s8, v96, v[84:85]
	v_mul_f64 v[0:1], v[94:95], s[0:1]
	v_mul_f64 v[2:3], v[2:3], s[0:1]
	v_add_u32_e32 v9, s2, v9
	global_store_dwordx4 v[8:9], v[0:3], off
	ds_read_b128 v[4:7], v156 offset:4224
	v_mad_u64_u32 v[12:13], s[4:5], s8, v96, v[8:9]
	s_waitcnt vmcnt(11) lgkmcnt(2)
	v_mul_f64 v[0:1], v[56:57], v[22:23]
	v_mul_f64 v[2:3], v[54:55], v[22:23]
	v_fmac_f64_e32 v[0:1], v[54:55], v[20:21]
	v_fma_f64 v[2:3], v[20:21], v[56:57], -v[2:3]
	v_mul_f64 v[0:1], v[0:1], s[0:1]
	v_mul_f64 v[2:3], v[2:3], s[0:1]
	v_add_u32_e32 v13, s2, v13
	global_store_dwordx4 v[12:13], v[0:3], off
	ds_read_b128 v[0:3], v156 offset:4928
	s_waitcnt vmcnt(11) lgkmcnt(1)
	v_mul_f64 v[8:9], v[6:7], v[30:31]
	v_fmac_f64_e32 v[8:9], v[4:5], v[28:29]
	v_mul_f64 v[4:5], v[4:5], v[30:31]
	v_fma_f64 v[4:5], v[28:29], v[6:7], -v[4:5]
	v_mul_f64 v[10:11], v[4:5], s[0:1]
	s_waitcnt vmcnt(10) lgkmcnt(0)
	v_mul_f64 v[4:5], v[2:3], v[64:65]
	v_fmac_f64_e32 v[4:5], v[0:1], v[62:63]
	v_mul_f64 v[0:1], v[0:1], v[64:65]
	v_mad_u64_u32 v[12:13], s[4:5], s8, v96, v[12:13]
	v_fma_f64 v[0:1], v[62:63], v[2:3], -v[0:1]
	v_mul_f64 v[8:9], v[8:9], s[0:1]
	v_add_u32_e32 v13, s2, v13
	v_mul_f64 v[6:7], v[0:1], s[0:1]
	ds_read_b128 v[0:3], v156 offset:5632
	global_store_dwordx4 v[12:13], v[8:11], off
	v_mad_u64_u32 v[12:13], s[4:5], s8, v96, v[12:13]
	v_mul_f64 v[4:5], v[4:5], s[0:1]
	v_add_u32_e32 v13, s2, v13
	global_store_dwordx4 v[12:13], v[4:7], off
	ds_read_b128 v[4:7], v156 offset:6336
	s_waitcnt vmcnt(11) lgkmcnt(1)
	v_mul_f64 v[8:9], v[2:3], v[68:69]
	v_fmac_f64_e32 v[8:9], v[0:1], v[66:67]
	v_mul_f64 v[0:1], v[0:1], v[68:69]
	v_fma_f64 v[0:1], v[66:67], v[2:3], -v[0:1]
	v_mul_f64 v[10:11], v[0:1], s[0:1]
	v_mad_u64_u32 v[12:13], s[4:5], s8, v96, v[12:13]
	s_waitcnt vmcnt(10) lgkmcnt(0)
	v_mul_f64 v[0:1], v[6:7], v[72:73]
	v_mul_f64 v[2:3], v[4:5], v[72:73]
	v_mul_f64 v[8:9], v[8:9], s[0:1]
	v_add_u32_e32 v13, s2, v13
	v_fmac_f64_e32 v[0:1], v[4:5], v[70:71]
	v_fma_f64 v[2:3], v[70:71], v[6:7], -v[2:3]
	ds_read_b128 v[4:7], v156 offset:7040
	global_store_dwordx4 v[12:13], v[8:11], off
	v_mad_u64_u32 v[12:13], s[4:5], s8, v96, v[12:13]
	v_mul_f64 v[0:1], v[0:1], s[0:1]
	v_mul_f64 v[2:3], v[2:3], s[0:1]
	v_add_u32_e32 v13, s2, v13
	global_store_dwordx4 v[12:13], v[0:3], off
	ds_read_b128 v[0:3], v156 offset:7744
	s_waitcnt vmcnt(11) lgkmcnt(1)
	v_mul_f64 v[8:9], v[6:7], v[76:77]
	v_fmac_f64_e32 v[8:9], v[4:5], v[74:75]
	v_mul_f64 v[4:5], v[4:5], v[76:77]
	v_fma_f64 v[4:5], v[74:75], v[6:7], -v[4:5]
	v_mul_f64 v[10:11], v[4:5], s[0:1]
	v_mad_u64_u32 v[12:13], s[4:5], s8, v96, v[12:13]
	s_waitcnt vmcnt(10) lgkmcnt(0)
	v_mul_f64 v[4:5], v[2:3], v[80:81]
	v_mul_f64 v[8:9], v[8:9], s[0:1]
	v_add_u32_e32 v13, s2, v13
	v_fmac_f64_e32 v[4:5], v[0:1], v[78:79]
	v_mul_f64 v[0:1], v[0:1], v[80:81]
	global_store_dwordx4 v[12:13], v[8:11], off
	v_fma_f64 v[0:1], v[78:79], v[2:3], -v[0:1]
	v_mul_f64 v[4:5], v[4:5], s[0:1]
	v_mad_u64_u32 v[8:9], s[4:5], s8, v96, v[12:13]
	v_mul_f64 v[6:7], v[0:1], s[0:1]
	v_add_u32_e32 v9, s2, v9
	v_add_co_u32_e32 v0, vcc, s3, v36
	global_store_dwordx4 v[8:9], v[4:7], off
	s_nop 0
	v_addc_co_u32_e32 v1, vcc, 0, v37, vcc
	global_load_dwordx4 v[0:3], v[0:1], off offset:256
	s_waitcnt vmcnt(0)
	v_mul_f64 v[4:5], v[60:61], v[2:3]
	v_mul_f64 v[2:3], v[58:59], v[2:3]
	v_fmac_f64_e32 v[4:5], v[58:59], v[0:1]
	v_fma_f64 v[0:1], v[0:1], v[60:61], -v[2:3]
	v_mul_f64 v[4:5], v[4:5], s[0:1]
	v_mul_f64 v[6:7], v[0:1], s[0:1]
	v_mad_u64_u32 v[0:1], s[0:1], s8, v96, v[8:9]
	v_add_u32_e32 v1, s2, v1
	global_store_dwordx4 v[0:1], v[4:7], off
.LBB0_23:
	s_endpgm
	.section	.rodata,"a",@progbits
	.p2align	6, 0x0
	.amdhsa_kernel bluestein_single_back_len572_dim1_dp_op_CI_CI
		.amdhsa_group_segment_fixed_size 9152
		.amdhsa_private_segment_fixed_size 0
		.amdhsa_kernarg_size 104
		.amdhsa_user_sgpr_count 2
		.amdhsa_user_sgpr_dispatch_ptr 0
		.amdhsa_user_sgpr_queue_ptr 0
		.amdhsa_user_sgpr_kernarg_segment_ptr 1
		.amdhsa_user_sgpr_dispatch_id 0
		.amdhsa_user_sgpr_kernarg_preload_length 0
		.amdhsa_user_sgpr_kernarg_preload_offset 0
		.amdhsa_user_sgpr_private_segment_size 0
		.amdhsa_uses_dynamic_stack 0
		.amdhsa_enable_private_segment 0
		.amdhsa_system_sgpr_workgroup_id_x 1
		.amdhsa_system_sgpr_workgroup_id_y 0
		.amdhsa_system_sgpr_workgroup_id_z 0
		.amdhsa_system_sgpr_workgroup_info 0
		.amdhsa_system_vgpr_workitem_id 0
		.amdhsa_next_free_vgpr 296
		.amdhsa_next_free_sgpr 50
		.amdhsa_accum_offset 256
		.amdhsa_reserve_vcc 1
		.amdhsa_float_round_mode_32 0
		.amdhsa_float_round_mode_16_64 0
		.amdhsa_float_denorm_mode_32 3
		.amdhsa_float_denorm_mode_16_64 3
		.amdhsa_dx10_clamp 1
		.amdhsa_ieee_mode 1
		.amdhsa_fp16_overflow 0
		.amdhsa_tg_split 0
		.amdhsa_exception_fp_ieee_invalid_op 0
		.amdhsa_exception_fp_denorm_src 0
		.amdhsa_exception_fp_ieee_div_zero 0
		.amdhsa_exception_fp_ieee_overflow 0
		.amdhsa_exception_fp_ieee_underflow 0
		.amdhsa_exception_fp_ieee_inexact 0
		.amdhsa_exception_int_div_zero 0
	.end_amdhsa_kernel
	.text
.Lfunc_end0:
	.size	bluestein_single_back_len572_dim1_dp_op_CI_CI, .Lfunc_end0-bluestein_single_back_len572_dim1_dp_op_CI_CI
                                        ; -- End function
	.section	.AMDGPU.csdata,"",@progbits
; Kernel info:
; codeLenInByte = 19396
; NumSgprs: 56
; NumVgprs: 256
; NumAgprs: 40
; TotalNumVgprs: 296
; ScratchSize: 0
; MemoryBound: 0
; FloatMode: 240
; IeeeMode: 1
; LDSByteSize: 9152 bytes/workgroup (compile time only)
; SGPRBlocks: 6
; VGPRBlocks: 36
; NumSGPRsForWavesPerEU: 56
; NumVGPRsForWavesPerEU: 296
; AccumOffset: 256
; Occupancy: 1
; WaveLimiterHint : 1
; COMPUTE_PGM_RSRC2:SCRATCH_EN: 0
; COMPUTE_PGM_RSRC2:USER_SGPR: 2
; COMPUTE_PGM_RSRC2:TRAP_HANDLER: 0
; COMPUTE_PGM_RSRC2:TGID_X_EN: 1
; COMPUTE_PGM_RSRC2:TGID_Y_EN: 0
; COMPUTE_PGM_RSRC2:TGID_Z_EN: 0
; COMPUTE_PGM_RSRC2:TIDIG_COMP_CNT: 0
; COMPUTE_PGM_RSRC3_GFX90A:ACCUM_OFFSET: 63
; COMPUTE_PGM_RSRC3_GFX90A:TG_SPLIT: 0
	.text
	.p2alignl 6, 3212836864
	.fill 256, 4, 3212836864
	.type	__hip_cuid_72ec687ab7253dde,@object ; @__hip_cuid_72ec687ab7253dde
	.section	.bss,"aw",@nobits
	.globl	__hip_cuid_72ec687ab7253dde
__hip_cuid_72ec687ab7253dde:
	.byte	0                               ; 0x0
	.size	__hip_cuid_72ec687ab7253dde, 1

	.ident	"AMD clang version 19.0.0git (https://github.com/RadeonOpenCompute/llvm-project roc-6.4.0 25133 c7fe45cf4b819c5991fe208aaa96edf142730f1d)"
	.section	".note.GNU-stack","",@progbits
	.addrsig
	.addrsig_sym __hip_cuid_72ec687ab7253dde
	.amdgpu_metadata
---
amdhsa.kernels:
  - .agpr_count:     40
    .args:
      - .actual_access:  read_only
        .address_space:  global
        .offset:         0
        .size:           8
        .value_kind:     global_buffer
      - .actual_access:  read_only
        .address_space:  global
        .offset:         8
        .size:           8
        .value_kind:     global_buffer
      - .actual_access:  read_only
        .address_space:  global
        .offset:         16
        .size:           8
        .value_kind:     global_buffer
      - .actual_access:  read_only
        .address_space:  global
        .offset:         24
        .size:           8
        .value_kind:     global_buffer
      - .actual_access:  read_only
        .address_space:  global
        .offset:         32
        .size:           8
        .value_kind:     global_buffer
      - .offset:         40
        .size:           8
        .value_kind:     by_value
      - .address_space:  global
        .offset:         48
        .size:           8
        .value_kind:     global_buffer
      - .address_space:  global
        .offset:         56
        .size:           8
        .value_kind:     global_buffer
      - .address_space:  global
        .offset:         64
        .size:           8
        .value_kind:     global_buffer
      - .address_space:  global
        .offset:         72
        .size:           8
        .value_kind:     global_buffer
      - .offset:         80
        .size:           4
        .value_kind:     by_value
      - .address_space:  global
        .offset:         88
        .size:           8
        .value_kind:     global_buffer
      - .address_space:  global
        .offset:         96
        .size:           8
        .value_kind:     global_buffer
    .group_segment_fixed_size: 9152
    .kernarg_segment_align: 8
    .kernarg_segment_size: 104
    .language:       OpenCL C
    .language_version:
      - 2
      - 0
    .max_flat_workgroup_size: 52
    .name:           bluestein_single_back_len572_dim1_dp_op_CI_CI
    .private_segment_fixed_size: 0
    .sgpr_count:     56
    .sgpr_spill_count: 0
    .symbol:         bluestein_single_back_len572_dim1_dp_op_CI_CI.kd
    .uniform_work_group_size: 1
    .uses_dynamic_stack: false
    .vgpr_count:     296
    .vgpr_spill_count: 0
    .wavefront_size: 64
amdhsa.target:   amdgcn-amd-amdhsa--gfx950
amdhsa.version:
  - 1
  - 2
...

	.end_amdgpu_metadata
